;; amdgpu-corpus repo=pytorch/pytorch kind=compiled arch=gfx1030 opt=O3
	.amdgcn_target "amdgcn-amd-amdhsa--gfx1030"
	.amdhsa_code_object_version 6
	.section	.text._ZN2at6native21col2im_batched_kernelIdEEvlPKT_llllllllllllllPS2_l,"axG",@progbits,_ZN2at6native21col2im_batched_kernelIdEEvlPKT_llllllllllllllPS2_l,comdat
	.protected	_ZN2at6native21col2im_batched_kernelIdEEvlPKT_llllllllllllllPS2_l ; -- Begin function _ZN2at6native21col2im_batched_kernelIdEEvlPKT_llllllllllllllPS2_l
	.globl	_ZN2at6native21col2im_batched_kernelIdEEvlPKT_llllllllllllllPS2_l
	.p2align	8
	.type	_ZN2at6native21col2im_batched_kernelIdEEvlPKT_llllllllllllllPS2_l,@function
_ZN2at6native21col2im_batched_kernelIdEEvlPKT_llllllllllllllPS2_l: ; @_ZN2at6native21col2im_batched_kernelIdEEvlPKT_llllllllllllllPS2_l
; %bb.0:
	s_clause 0x1
	s_load_dwordx16 s[8:23], s[4:5], 0x0
	s_load_dword s2, s[4:5], 0x9c
	v_mov_b32_e32 v2, 0
	v_mov_b32_e32 v1, v2
	s_waitcnt lgkmcnt(0)
	s_mul_i32 s0, s14, s9
	s_mul_hi_u32 s1, s14, s8
	s_mul_i32 s3, s15, s8
	s_add_i32 s0, s1, s0
	s_mul_i32 s14, s14, s8
	s_add_i32 s15, s0, s3
	s_add_u32 s0, s4, 0x90
	s_addc_u32 s1, s5, 0
	s_and_b32 s2, s2, 0xffff
	s_mov_b32 s3, exec_lo
	v_mad_u64_u32 v[0:1], null, s2, s6, v[0:1]
	v_cmpx_gt_i64_e64 s[14:15], v[0:1]
	s_cbranch_execz .LBB0_59
; %bb.1:
	s_load_dwordx16 s[36:51], s[4:5], 0x40
	s_load_dword s0, s[0:1], 0x0
	v_cvt_f32_u32_e32 v3, s8
	s_mul_i32 s1, s18, s17
	s_mul_hi_u32 s3, s18, s16
	s_mul_i32 s24, s19, s16
	s_add_i32 s1, s3, s1
	s_load_dwordx4 s[4:7], s[4:5], 0x80
	v_rcp_iflag_f32_e32 v3, v3
	s_add_i32 s59, s1, s24
	s_add_u32 s1, s22, -1
	s_addc_u32 s3, s23, -1
	s_mul_i32 s33, s18, s16
	s_mov_b32 s58, 0
	v_mul_f32_e32 v3, 0x4f7ffffe, v3
	s_waitcnt lgkmcnt(0)
	s_mul_i32 s3, s46, s3
	s_mul_hi_u32 s25, s46, s1
	s_mul_i32 s26, s47, s1
	s_mul_i32 s60, s0, s2
	s_add_i32 s0, s25, s3
	s_mul_i32 s24, s46, s1
	s_add_i32 s25, s0, s26
	s_add_u32 s0, s20, -1
	s_addc_u32 s1, s21, -1
	s_mul_hi_u32 s2, s44, s0
	s_mul_i32 s1, s44, s1
	s_mul_i32 s3, s45, s0
	s_add_i32 s1, s2, s1
	v_cvt_u32_f32_e32 v36, v3
	s_mul_i32 s30, s44, s0
	s_add_i32 s31, s1, s3
	s_not_b64 s[26:27], s[24:25]
	s_lshl_b64 s[28:29], s[50:51], 3
	s_lshl_b64 s[12:13], s[12:13], 3
	s_not_b64 s[34:35], s[30:31]
	s_ashr_i32 s52, s9, 31
	s_branch .LBB0_4
.LBB0_2:                                ;   in Loop: Header=BB0_4 Depth=1
	s_or_b32 exec_lo, exec_lo, s61
.LBB0_3:                                ;   in Loop: Header=BB0_4 Depth=1
	s_or_b32 exec_lo, exec_lo, s53
	v_mul_lo_u32 v5, v5, s6
	v_mul_lo_u32 v8, v4, s7
	v_mad_u64_u32 v[3:4], null, v4, s6, 0
	v_add_co_u32 v0, vcc_lo, v0, s60
	v_add_co_ci_u32_e64 v1, null, 0, v1, vcc_lo
	v_add3_u32 v4, v4, v8, v5
	v_lshlrev_b64 v[5:6], 3, v[6:7]
	v_lshlrev_b64 v[3:4], 3, v[3:4]
	v_add_co_u32 v3, vcc_lo, s4, v3
	v_add_co_ci_u32_e64 v4, null, s5, v4, vcc_lo
	v_cmp_le_i64_e32 vcc_lo, s[14:15], v[0:1]
	v_add_co_u32 v3, s0, v3, v5
	v_add_co_ci_u32_e64 v4, null, v4, v6, s0
	s_or_b32 s58, vcc_lo, s58
	global_store_dwordx2 v[3:4], v[22:23], off
	s_andn2_b32 exec_lo, exec_lo, s58
	s_cbranch_execz .LBB0_59
.LBB0_4:                                ; =>This Loop Header: Depth=1
                                        ;     Child Loop BB0_44 Depth 2
                                        ;       Child Loop BB0_52 Depth 3
	v_or_b32_e32 v3, s9, v1
                                        ; implicit-def: $vgpr4_vgpr5
	s_mov_b32 s0, exec_lo
	v_cmpx_ne_u64_e32 0, v[2:3]
	s_xor_b32 s1, exec_lo, s0
	s_cbranch_execz .LBB0_6
; %bb.5:                                ;   in Loop: Header=BB0_4 Depth=1
	s_add_u32 s2, s8, s52
	s_mov_b32 s53, s52
	s_addc_u32 s3, s9, s52
	v_ashrrev_i32_e32 v9, 31, v1
	s_xor_b64 s[2:3], s[2:3], s[52:53]
	v_cvt_f32_u32_e32 v3, s2
	v_cvt_f32_u32_e32 v4, s3
	s_sub_u32 s0, 0, s2
	s_subb_u32 s55, 0, s3
	v_add_co_u32 v5, vcc_lo, v0, v9
	v_fmac_f32_e32 v3, 0x4f800000, v4
	v_xor_b32_e32 v10, v5, v9
	v_rcp_f32_e32 v3, v3
	v_mul_f32_e32 v3, 0x5f7ffffc, v3
	v_mul_f32_e32 v4, 0x2f800000, v3
	v_trunc_f32_e32 v4, v4
	v_fmac_f32_e32 v3, 0xcf800000, v4
	v_cvt_u32_f32_e32 v4, v4
	v_cvt_u32_f32_e32 v3, v3
	v_readfirstlane_b32 s53, v4
	v_readfirstlane_b32 s54, v3
	s_mul_i32 s56, s0, s53
	v_add_co_ci_u32_e64 v3, null, v1, v9, vcc_lo
	s_mul_hi_u32 s61, s0, s54
	s_mul_i32 s57, s55, s54
	s_add_i32 s56, s61, s56
	s_mul_i32 s62, s0, s54
	s_add_i32 s56, s56, s57
	s_mul_hi_u32 s61, s54, s62
	s_mul_i32 s64, s54, s56
	s_mul_hi_u32 s63, s53, s62
	s_mul_i32 s57, s53, s62
	s_mul_hi_u32 s62, s54, s56
	s_add_u32 s61, s61, s64
	s_addc_u32 s62, 0, s62
	s_mul_hi_u32 s65, s53, s56
	s_add_u32 s57, s61, s57
	s_mul_i32 s56, s53, s56
	s_addc_u32 s57, s62, s63
	s_addc_u32 s61, s65, 0
	s_add_u32 s56, s57, s56
	s_addc_u32 s57, 0, s61
	s_add_u32 s54, s54, s56
	s_cselect_b32 s56, -1, 0
	s_mul_hi_u32 s61, s0, s54
	s_cmp_lg_u32 s56, 0
	s_mul_i32 s56, s0, s54
	s_addc_u32 s53, s53, s57
	s_mul_i32 s55, s55, s54
	s_mul_i32 s0, s0, s53
	s_mul_hi_u32 s57, s54, s56
	s_add_i32 s0, s61, s0
	s_mul_hi_u32 s61, s53, s56
	s_add_i32 s0, s0, s55
	s_mul_i32 s55, s53, s56
	s_mul_i32 s63, s54, s0
	s_mul_hi_u32 s62, s54, s0
	s_add_u32 s57, s57, s63
	s_addc_u32 s62, 0, s62
	s_mul_hi_u32 s56, s53, s0
	s_add_u32 s55, s57, s55
	s_mul_i32 s0, s53, s0
	s_addc_u32 s55, s62, s61
	s_addc_u32 s56, s56, 0
	s_add_u32 s0, s55, s0
	s_addc_u32 s55, 0, s56
	s_add_u32 s0, s54, s0
	s_cselect_b32 s54, -1, 0
	v_xor_b32_e32 v11, v3, v9
	s_cmp_lg_u32 s54, 0
	v_mul_hi_u32 v12, v10, s0
	s_addc_u32 s53, s53, s55
	v_mad_u64_u32 v[3:4], null, v10, s53, 0
	v_mad_u64_u32 v[5:6], null, v11, s0, 0
	;; [unrolled: 1-line block ×3, first 2 shown]
	v_add_co_u32 v3, vcc_lo, v12, v3
	v_add_co_ci_u32_e64 v4, null, 0, v4, vcc_lo
	v_add_co_u32 v3, vcc_lo, v3, v5
	v_add_co_ci_u32_e32 v3, vcc_lo, v4, v6, vcc_lo
	v_add_co_ci_u32_e32 v4, vcc_lo, 0, v8, vcc_lo
	v_add_co_u32 v5, vcc_lo, v3, v7
	v_add_co_ci_u32_e64 v6, null, 0, v4, vcc_lo
	v_mul_lo_u32 v7, s3, v5
	v_mad_u64_u32 v[3:4], null, s2, v5, 0
	v_mul_lo_u32 v8, s2, v6
	v_sub_co_u32 v3, vcc_lo, v10, v3
	v_add3_u32 v4, v4, v8, v7
	v_add_co_u32 v8, s0, v5, 2
	v_add_co_ci_u32_e64 v10, null, 0, v6, s0
	v_sub_nc_u32_e32 v7, v11, v4
	v_sub_co_u32 v12, s0, v3, s2
	v_sub_co_ci_u32_e64 v4, null, v11, v4, vcc_lo
	v_subrev_co_ci_u32_e64 v7, null, s3, v7, vcc_lo
	v_cmp_le_u32_e32 vcc_lo, s2, v12
	v_subrev_co_ci_u32_e64 v7, null, 0, v7, s0
	v_cndmask_b32_e64 v11, 0, -1, vcc_lo
	v_cmp_le_u32_e32 vcc_lo, s3, v7
	v_cndmask_b32_e64 v12, 0, -1, vcc_lo
	v_cmp_le_u32_e32 vcc_lo, s2, v3
	;; [unrolled: 2-line block ×3, first 2 shown]
	v_cndmask_b32_e64 v13, 0, -1, vcc_lo
	v_cmp_eq_u32_e32 vcc_lo, s3, v7
	v_cndmask_b32_e32 v7, v12, v11, vcc_lo
	v_add_co_u32 v11, vcc_lo, v5, 1
	v_add_co_ci_u32_e64 v12, null, 0, v6, vcc_lo
	v_cmp_eq_u32_e32 vcc_lo, s3, v4
	v_cndmask_b32_e32 v3, v13, v3, vcc_lo
	v_cmp_ne_u32_e32 vcc_lo, 0, v7
	v_xor_b32_e32 v7, s52, v9
	v_cmp_ne_u32_e64 s0, 0, v3
	v_cndmask_b32_e32 v3, v11, v8, vcc_lo
	v_cndmask_b32_e32 v4, v12, v10, vcc_lo
	v_cndmask_b32_e64 v3, v5, v3, s0
	v_cndmask_b32_e64 v4, v6, v4, s0
	v_xor_b32_e32 v3, v3, v7
	v_xor_b32_e32 v5, v4, v7
	v_sub_co_u32 v4, vcc_lo, v3, v7
	v_sub_co_ci_u32_e64 v5, null, v5, v7, vcc_lo
.LBB0_6:                                ;   in Loop: Header=BB0_4 Depth=1
	s_andn2_saveexec_b32 s0, s1
	s_cbranch_execz .LBB0_8
; %bb.7:                                ;   in Loop: Header=BB0_4 Depth=1
	s_sub_i32 s1, 0, s8
	v_mul_lo_u32 v3, s1, v36
	v_mul_hi_u32 v3, v36, v3
	v_add_nc_u32_e32 v3, v36, v3
	v_mul_hi_u32 v3, v0, v3
	v_mul_lo_u32 v4, v3, s8
	v_add_nc_u32_e32 v5, 1, v3
	v_sub_nc_u32_e32 v4, v0, v4
	v_subrev_nc_u32_e32 v6, s8, v4
	v_cmp_le_u32_e32 vcc_lo, s8, v4
	v_cndmask_b32_e32 v4, v4, v6, vcc_lo
	v_cndmask_b32_e32 v3, v3, v5, vcc_lo
	v_cmp_le_u32_e32 vcc_lo, s8, v4
	v_add_nc_u32_e32 v5, 1, v3
	v_cndmask_b32_e32 v4, v3, v5, vcc_lo
	v_mov_b32_e32 v5, v2
.LBB0_8:                                ;   in Loop: Header=BB0_4 Depth=1
	s_or_b32 exec_lo, exec_lo, s0
	v_mul_lo_u32 v3, v5, s8
	v_mul_lo_u32 v6, v4, s9
	v_mad_u64_u32 v[8:9], null, v4, s8, 0
                                        ; implicit-def: $vgpr10_vgpr11
	s_mov_b32 s0, exec_lo
	v_add3_u32 v9, v9, v6, v3
	v_sub_co_u32 v6, vcc_lo, v0, v8
	v_sub_co_ci_u32_e64 v7, null, v1, v9, vcc_lo
	v_or_b32_e32 v3, s19, v7
	v_ashrrev_i32_e32 v14, 31, v7
	v_cmpx_ne_u64_e32 0, v[2:3]
	s_xor_b32 s1, exec_lo, s0
	s_cbranch_execz .LBB0_10
; %bb.9:                                ;   in Loop: Header=BB0_4 Depth=1
	s_ashr_i32 s2, s19, 31
	v_add_co_u32 v11, vcc_lo, v6, v14
	s_add_u32 s54, s18, s2
	s_mov_b32 s3, s2
	s_addc_u32 s55, s19, s2
	v_add_co_ci_u32_e64 v12, null, v7, v14, vcc_lo
	s_xor_b64 s[54:55], s[54:55], s[2:3]
	v_cvt_f32_u32_e32 v3, s54
	v_cvt_f32_u32_e32 v10, s55
	s_sub_u32 s53, 0, s54
	s_subb_u32 s56, 0, s55
	v_xor_b32_e32 v17, v12, v14
	v_fmac_f32_e32 v3, 0x4f800000, v10
	v_rcp_f32_e32 v3, v3
	v_mul_f32_e32 v3, 0x5f7ffffc, v3
	v_mul_f32_e32 v10, 0x2f800000, v3
	v_trunc_f32_e32 v10, v10
	v_fmac_f32_e32 v3, 0xcf800000, v10
	v_cvt_u32_f32_e32 v10, v10
	v_cvt_u32_f32_e32 v3, v3
	v_readfirstlane_b32 s0, v10
	v_readfirstlane_b32 s3, v3
	s_mul_i32 s57, s53, s0
	v_xor_b32_e32 v3, v11, v14
	s_mul_hi_u32 s62, s53, s3
	s_mul_i32 s61, s56, s3
	s_add_i32 s57, s62, s57
	s_mul_i32 s63, s53, s3
	s_add_i32 s57, s57, s61
	s_mul_hi_u32 s62, s3, s63
	s_mul_i32 s65, s3, s57
	s_mul_hi_u32 s64, s0, s63
	s_mul_i32 s61, s0, s63
	s_mul_hi_u32 s63, s3, s57
	s_add_u32 s62, s62, s65
	s_addc_u32 s63, 0, s63
	s_mul_hi_u32 s66, s0, s57
	s_add_u32 s61, s62, s61
	s_mul_i32 s57, s0, s57
	s_addc_u32 s61, s63, s64
	s_addc_u32 s62, s66, 0
	s_add_u32 s57, s61, s57
	s_addc_u32 s61, 0, s62
	s_add_u32 s3, s3, s57
	s_cselect_b32 s57, -1, 0
	s_mul_hi_u32 s62, s53, s3
	s_cmp_lg_u32 s57, 0
	s_mul_i32 s57, s53, s3
	s_addc_u32 s0, s0, s61
	s_mul_i32 s56, s56, s3
	s_mul_i32 s53, s53, s0
	s_mul_hi_u32 s61, s3, s57
	s_add_i32 s53, s62, s53
	s_mul_hi_u32 s62, s0, s57
	s_add_i32 s53, s53, s56
	s_mul_i32 s56, s0, s57
	s_mul_i32 s64, s3, s53
	s_mul_hi_u32 s63, s3, s53
	s_add_u32 s61, s61, s64
	s_addc_u32 s63, 0, s63
	s_mul_hi_u32 s57, s0, s53
	s_add_u32 s56, s61, s56
	s_mul_i32 s53, s0, s53
	s_addc_u32 s56, s63, s62
	s_addc_u32 s57, s57, 0
	s_add_u32 s53, s56, s53
	s_addc_u32 s56, 0, s57
	s_add_u32 s3, s3, s53
	s_cselect_b32 s53, -1, 0
	v_mul_hi_u32 v18, v3, s3
	s_cmp_lg_u32 s53, 0
	v_mad_u64_u32 v[12:13], null, v17, s3, 0
	s_addc_u32 s0, s0, s56
	v_mad_u64_u32 v[10:11], null, v3, s0, 0
	v_mad_u64_u32 v[15:16], null, v17, s0, 0
	v_add_co_u32 v10, vcc_lo, v18, v10
	v_add_co_ci_u32_e64 v11, null, 0, v11, vcc_lo
	v_add_co_u32 v10, vcc_lo, v10, v12
	v_add_co_ci_u32_e32 v10, vcc_lo, v11, v13, vcc_lo
	v_add_co_ci_u32_e32 v11, vcc_lo, 0, v16, vcc_lo
	v_add_co_u32 v12, vcc_lo, v10, v15
	v_add_co_ci_u32_e64 v13, null, 0, v11, vcc_lo
	v_mul_lo_u32 v15, s55, v12
	v_mad_u64_u32 v[10:11], null, s54, v12, 0
	v_mul_lo_u32 v16, s54, v13
	v_sub_co_u32 v3, vcc_lo, v3, v10
	v_add3_u32 v11, v11, v16, v15
	v_sub_nc_u32_e32 v15, v17, v11
	v_sub_co_ci_u32_e64 v11, null, v17, v11, vcc_lo
	v_subrev_co_ci_u32_e64 v10, null, s55, v15, vcc_lo
	v_add_co_u32 v15, s0, v12, 2
	v_add_co_ci_u32_e64 v16, null, 0, v13, s0
	v_sub_co_u32 v18, s0, v3, s54
	v_subrev_co_ci_u32_e64 v10, null, 0, v10, s0
	v_cmp_le_u32_e32 vcc_lo, s54, v18
	v_cndmask_b32_e64 v17, 0, -1, vcc_lo
	v_cmp_le_u32_e32 vcc_lo, s55, v10
	v_cndmask_b32_e64 v18, 0, -1, vcc_lo
	;; [unrolled: 2-line block ×4, first 2 shown]
	v_cmp_eq_u32_e32 vcc_lo, s55, v10
	v_cndmask_b32_e32 v10, v18, v17, vcc_lo
	v_add_co_u32 v17, vcc_lo, v12, 1
	v_add_co_ci_u32_e64 v18, null, 0, v13, vcc_lo
	v_cmp_eq_u32_e32 vcc_lo, s55, v11
	v_xor_b32_e32 v11, s2, v14
	v_cndmask_b32_e32 v3, v19, v3, vcc_lo
	v_cmp_ne_u32_e32 vcc_lo, 0, v10
	v_cmp_ne_u32_e64 s0, 0, v3
	v_cndmask_b32_e32 v3, v17, v15, vcc_lo
	v_cndmask_b32_e32 v10, v18, v16, vcc_lo
	v_cndmask_b32_e64 v3, v12, v3, s0
	v_cndmask_b32_e64 v10, v13, v10, s0
	v_xor_b32_e32 v3, v3, v11
	v_xor_b32_e32 v12, v10, v11
	v_sub_co_u32 v10, vcc_lo, v3, v11
	v_sub_co_ci_u32_e64 v11, null, v12, v11, vcc_lo
.LBB0_10:                               ;   in Loop: Header=BB0_4 Depth=1
	s_andn2_saveexec_b32 s0, s1
	s_cbranch_execz .LBB0_12
; %bb.11:                               ;   in Loop: Header=BB0_4 Depth=1
	v_cvt_f32_u32_e32 v3, s18
	s_sub_i32 s1, 0, s18
	v_rcp_iflag_f32_e32 v3, v3
	v_mul_f32_e32 v3, 0x4f7ffffe, v3
	v_cvt_u32_f32_e32 v3, v3
	v_mul_lo_u32 v10, s1, v3
	v_mul_hi_u32 v10, v3, v10
	v_add_nc_u32_e32 v3, v3, v10
	v_mul_hi_u32 v3, v6, v3
	v_mul_lo_u32 v10, v3, s18
	v_add_nc_u32_e32 v11, 1, v3
	v_sub_nc_u32_e32 v10, v6, v10
	v_subrev_nc_u32_e32 v12, s18, v10
	v_cmp_le_u32_e32 vcc_lo, s18, v10
	v_cndmask_b32_e32 v10, v10, v12, vcc_lo
	v_cndmask_b32_e32 v3, v3, v11, vcc_lo
	v_cmp_le_u32_e32 vcc_lo, s18, v10
	v_add_nc_u32_e32 v11, 1, v3
	v_cndmask_b32_e32 v10, v3, v11, vcc_lo
	v_mov_b32_e32 v11, v2
.LBB0_12:                               ;   in Loop: Header=BB0_4 Depth=1
	s_or_b32 exec_lo, exec_lo, s0
	v_or_b32_e32 v3, s17, v11
                                        ; implicit-def: $vgpr12_vgpr13
	s_mov_b32 s0, exec_lo
	v_cmpx_ne_u64_e32 0, v[2:3]
	s_xor_b32 s1, exec_lo, s0
	s_cbranch_execz .LBB0_14
; %bb.13:                               ;   in Loop: Header=BB0_4 Depth=1
	s_ashr_i32 s2, s17, 31
	v_ashrrev_i32_e32 v19, 31, v11
	s_add_u32 s54, s16, s2
	s_mov_b32 s3, s2
	s_addc_u32 s55, s17, s2
	s_xor_b64 s[2:3], s[54:55], s[2:3]
	v_add_co_u32 v13, vcc_lo, v10, v19
	v_cvt_f32_u32_e32 v3, s2
	v_cvt_f32_u32_e32 v12, s3
	s_sub_u32 s54, 0, s2
	s_subb_u32 s55, 0, s3
	v_add_co_ci_u32_e64 v15, null, v11, v19, vcc_lo
	v_fmac_f32_e32 v3, 0x4f800000, v12
	v_xor_b32_e32 v20, v15, v19
	v_rcp_f32_e32 v3, v3
	v_mul_f32_e32 v3, 0x5f7ffffc, v3
	v_mul_f32_e32 v12, 0x2f800000, v3
	v_trunc_f32_e32 v12, v12
	v_fmac_f32_e32 v3, 0xcf800000, v12
	v_cvt_u32_f32_e32 v12, v12
	v_cvt_u32_f32_e32 v3, v3
	v_readfirstlane_b32 s0, v12
	v_readfirstlane_b32 s53, v3
	s_mul_i32 s56, s54, s0
	v_xor_b32_e32 v3, v13, v19
	s_mul_hi_u32 s61, s54, s53
	s_mul_i32 s57, s55, s53
	s_add_i32 s56, s61, s56
	s_mul_i32 s62, s54, s53
	s_add_i32 s56, s56, s57
	s_mul_hi_u32 s61, s53, s62
	s_mul_i32 s64, s53, s56
	s_mul_hi_u32 s63, s0, s62
	s_mul_i32 s57, s0, s62
	s_mul_hi_u32 s62, s53, s56
	s_add_u32 s61, s61, s64
	s_addc_u32 s62, 0, s62
	s_mul_hi_u32 s65, s0, s56
	s_add_u32 s57, s61, s57
	s_mul_i32 s56, s0, s56
	s_addc_u32 s57, s62, s63
	s_addc_u32 s61, s65, 0
	s_add_u32 s56, s57, s56
	s_addc_u32 s57, 0, s61
	s_add_u32 s53, s53, s56
	s_cselect_b32 s56, -1, 0
	s_mul_hi_u32 s61, s54, s53
	s_cmp_lg_u32 s56, 0
	s_mul_i32 s56, s54, s53
	s_addc_u32 s0, s0, s57
	s_mul_i32 s55, s55, s53
	s_mul_i32 s54, s54, s0
	s_mul_hi_u32 s57, s53, s56
	s_add_i32 s54, s61, s54
	s_mul_hi_u32 s61, s0, s56
	s_add_i32 s54, s54, s55
	s_mul_i32 s55, s0, s56
	s_mul_i32 s63, s53, s54
	s_mul_hi_u32 s62, s53, s54
	s_add_u32 s57, s57, s63
	s_addc_u32 s62, 0, s62
	s_mul_hi_u32 s56, s0, s54
	s_add_u32 s55, s57, s55
	s_mul_i32 s54, s0, s54
	s_addc_u32 s55, s62, s61
	s_addc_u32 s56, s56, 0
	s_add_u32 s54, s55, s54
	s_addc_u32 s55, 0, s56
	s_add_u32 s53, s53, s54
	s_cselect_b32 s54, -1, 0
	v_mul_hi_u32 v21, v3, s53
	s_cmp_lg_u32 s54, 0
	v_mad_u64_u32 v[15:16], null, v20, s53, 0
	s_addc_u32 s0, s0, s55
	v_mad_u64_u32 v[12:13], null, v3, s0, 0
	v_mad_u64_u32 v[17:18], null, v20, s0, 0
	v_add_co_u32 v12, vcc_lo, v21, v12
	v_add_co_ci_u32_e64 v13, null, 0, v13, vcc_lo
	v_add_co_u32 v12, vcc_lo, v12, v15
	v_add_co_ci_u32_e32 v12, vcc_lo, v13, v16, vcc_lo
	v_add_co_ci_u32_e32 v13, vcc_lo, 0, v18, vcc_lo
	v_add_co_u32 v12, vcc_lo, v12, v17
	v_add_co_ci_u32_e64 v15, null, 0, v13, vcc_lo
	v_mul_lo_u32 v16, s3, v12
	v_mad_u64_u32 v[12:13], null, s2, v12, 0
	v_mul_lo_u32 v15, s2, v15
	v_sub_co_u32 v3, vcc_lo, v3, v12
	v_add3_u32 v13, v13, v15, v16
	v_cmp_le_u32_e64 s0, s2, v3
	v_sub_nc_u32_e32 v15, v20, v13
	v_sub_co_ci_u32_e64 v13, null, v20, v13, vcc_lo
	v_cndmask_b32_e64 v17, 0, -1, s0
	v_subrev_co_ci_u32_e64 v12, null, s3, v15, vcc_lo
	v_sub_co_u32 v15, vcc_lo, v3, s2
	v_subrev_co_ci_u32_e64 v16, null, 0, v12, vcc_lo
	v_cmp_le_u32_e64 s0, s2, v15
	v_subrev_co_ci_u32_e64 v12, null, s3, v12, vcc_lo
	v_cmp_le_u32_e32 vcc_lo, s3, v13
	v_cndmask_b32_e64 v18, 0, -1, s0
	v_cmp_le_u32_e64 s0, s3, v16
	v_cndmask_b32_e64 v21, 0, -1, vcc_lo
	v_cmp_eq_u32_e32 vcc_lo, s3, v16
	v_cndmask_b32_e64 v20, 0, -1, s0
	v_cmp_eq_u32_e64 s0, s3, v13
	v_cndmask_b32_e32 v18, v20, v18, vcc_lo
	v_sub_co_u32 v20, vcc_lo, v15, s2
	v_subrev_co_ci_u32_e64 v12, null, 0, v12, vcc_lo
	v_cmp_ne_u32_e32 vcc_lo, 0, v18
	v_cndmask_b32_e64 v17, v21, v17, s0
	v_cndmask_b32_e32 v12, v16, v12, vcc_lo
	v_cndmask_b32_e32 v15, v15, v20, vcc_lo
	v_cmp_ne_u32_e32 vcc_lo, 0, v17
	v_cndmask_b32_e32 v3, v3, v15, vcc_lo
	v_cndmask_b32_e32 v12, v13, v12, vcc_lo
	v_xor_b32_e32 v3, v3, v19
	v_xor_b32_e32 v13, v12, v19
	v_sub_co_u32 v12, vcc_lo, v3, v19
	v_sub_co_ci_u32_e64 v13, null, v13, v19, vcc_lo
.LBB0_14:                               ;   in Loop: Header=BB0_4 Depth=1
	s_andn2_saveexec_b32 s0, s1
	s_cbranch_execz .LBB0_16
; %bb.15:                               ;   in Loop: Header=BB0_4 Depth=1
	v_cvt_f32_u32_e32 v3, s16
	s_sub_i32 s1, 0, s16
	v_mov_b32_e32 v13, v2
	v_rcp_iflag_f32_e32 v3, v3
	v_mul_f32_e32 v3, 0x4f7ffffe, v3
	v_cvt_u32_f32_e32 v3, v3
	v_mul_lo_u32 v12, s1, v3
	v_mul_hi_u32 v12, v3, v12
	v_add_nc_u32_e32 v3, v3, v12
	v_mul_hi_u32 v3, v10, v3
	v_mul_lo_u32 v3, v3, s16
	v_sub_nc_u32_e32 v3, v10, v3
	v_subrev_nc_u32_e32 v12, s16, v3
	v_cmp_le_u32_e32 vcc_lo, s16, v3
	v_cndmask_b32_e32 v3, v3, v12, vcc_lo
	v_subrev_nc_u32_e32 v12, s16, v3
	v_cmp_le_u32_e32 vcc_lo, s16, v3
	v_cndmask_b32_e32 v12, v3, v12, vcc_lo
.LBB0_16:                               ;   in Loop: Header=BB0_4 Depth=1
	s_or_b32 exec_lo, exec_lo, s0
	v_or_b32_e32 v3, s59, v7
                                        ; implicit-def: $vgpr16_vgpr17
	s_mov_b32 s0, exec_lo
	v_cmpx_ne_u64_e32 0, v[2:3]
	s_xor_b32 s1, exec_lo, s0
	s_cbranch_execz .LBB0_18
; %bb.17:                               ;   in Loop: Header=BB0_4 Depth=1
	s_ashr_i32 s2, s59, 31
	v_add_co_u32 v16, vcc_lo, v6, v14
	s_add_u32 s54, s33, s2
	s_mov_b32 s3, s2
	s_addc_u32 s55, s59, s2
	v_add_co_ci_u32_e64 v17, null, v7, v14, vcc_lo
	s_xor_b64 s[54:55], s[54:55], s[2:3]
	v_cvt_f32_u32_e32 v3, s54
	v_cvt_f32_u32_e32 v15, s55
	s_sub_u32 s53, 0, s54
	s_subb_u32 s56, 0, s55
	v_xor_b32_e32 v21, v17, v14
	v_fmac_f32_e32 v3, 0x4f800000, v15
	v_rcp_f32_e32 v3, v3
	v_mul_f32_e32 v3, 0x5f7ffffc, v3
	v_mul_f32_e32 v15, 0x2f800000, v3
	v_trunc_f32_e32 v15, v15
	v_fmac_f32_e32 v3, 0xcf800000, v15
	v_cvt_u32_f32_e32 v15, v15
	v_cvt_u32_f32_e32 v3, v3
	v_readfirstlane_b32 s0, v15
	v_readfirstlane_b32 s3, v3
	s_mul_i32 s57, s53, s0
	v_xor_b32_e32 v3, v16, v14
	v_xor_b32_e32 v14, s2, v14
	s_mul_hi_u32 s62, s53, s3
	s_mul_i32 s61, s56, s3
	s_add_i32 s57, s62, s57
	s_mul_i32 s63, s53, s3
	s_add_i32 s57, s57, s61
	s_mul_hi_u32 s62, s3, s63
	s_mul_i32 s65, s3, s57
	s_mul_hi_u32 s64, s0, s63
	s_mul_i32 s61, s0, s63
	s_mul_hi_u32 s63, s3, s57
	s_add_u32 s62, s62, s65
	s_addc_u32 s63, 0, s63
	s_mul_hi_u32 s66, s0, s57
	s_add_u32 s61, s62, s61
	s_mul_i32 s57, s0, s57
	s_addc_u32 s61, s63, s64
	s_addc_u32 s62, s66, 0
	s_add_u32 s57, s61, s57
	s_addc_u32 s61, 0, s62
	s_add_u32 s3, s3, s57
	s_cselect_b32 s57, -1, 0
	s_mul_hi_u32 s62, s53, s3
	s_cmp_lg_u32 s57, 0
	s_mul_i32 s57, s53, s3
	s_addc_u32 s0, s0, s61
	s_mul_i32 s56, s56, s3
	s_mul_i32 s53, s53, s0
	s_mul_hi_u32 s61, s3, s57
	s_add_i32 s53, s62, s53
	s_mul_hi_u32 s62, s0, s57
	s_add_i32 s53, s53, s56
	s_mul_i32 s56, s0, s57
	s_mul_i32 s64, s3, s53
	s_mul_hi_u32 s63, s3, s53
	s_add_u32 s61, s61, s64
	s_addc_u32 s63, 0, s63
	s_mul_hi_u32 s57, s0, s53
	s_add_u32 s56, s61, s56
	s_mul_i32 s53, s0, s53
	s_addc_u32 s56, s63, s62
	s_addc_u32 s57, s57, 0
	s_add_u32 s53, s56, s53
	s_addc_u32 s56, 0, s57
	s_add_u32 s3, s3, s53
	s_cselect_b32 s53, -1, 0
	v_mul_hi_u32 v22, v3, s3
	s_cmp_lg_u32 s53, 0
	v_mad_u64_u32 v[17:18], null, v21, s3, 0
	s_addc_u32 s0, s0, s56
	v_mad_u64_u32 v[15:16], null, v3, s0, 0
	v_mad_u64_u32 v[19:20], null, v21, s0, 0
	v_add_co_u32 v15, vcc_lo, v22, v15
	v_add_co_ci_u32_e64 v16, null, 0, v16, vcc_lo
	v_add_co_u32 v15, vcc_lo, v15, v17
	v_add_co_ci_u32_e32 v15, vcc_lo, v16, v18, vcc_lo
	v_add_co_ci_u32_e32 v16, vcc_lo, 0, v20, vcc_lo
	v_add_co_u32 v17, vcc_lo, v15, v19
	v_add_co_ci_u32_e64 v18, null, 0, v16, vcc_lo
	v_mul_lo_u32 v19, s55, v17
	v_mad_u64_u32 v[15:16], null, s54, v17, 0
	v_mul_lo_u32 v20, s54, v18
	v_sub_co_u32 v3, vcc_lo, v3, v15
	v_add3_u32 v16, v16, v20, v19
	v_sub_nc_u32_e32 v19, v21, v16
	v_sub_co_ci_u32_e64 v16, null, v21, v16, vcc_lo
	v_subrev_co_ci_u32_e64 v15, null, s55, v19, vcc_lo
	v_add_co_u32 v19, s0, v17, 2
	v_add_co_ci_u32_e64 v20, null, 0, v18, s0
	v_sub_co_u32 v22, s0, v3, s54
	v_subrev_co_ci_u32_e64 v15, null, 0, v15, s0
	v_cmp_le_u32_e32 vcc_lo, s54, v22
	v_cndmask_b32_e64 v21, 0, -1, vcc_lo
	v_cmp_le_u32_e32 vcc_lo, s55, v15
	v_cndmask_b32_e64 v22, 0, -1, vcc_lo
	;; [unrolled: 2-line block ×4, first 2 shown]
	v_cmp_eq_u32_e32 vcc_lo, s55, v15
	v_cndmask_b32_e32 v15, v22, v21, vcc_lo
	v_add_co_u32 v21, vcc_lo, v17, 1
	v_add_co_ci_u32_e64 v22, null, 0, v18, vcc_lo
	v_cmp_eq_u32_e32 vcc_lo, s55, v16
	v_cndmask_b32_e32 v3, v23, v3, vcc_lo
	v_cmp_ne_u32_e32 vcc_lo, 0, v15
	v_cmp_ne_u32_e64 s0, 0, v3
	v_cndmask_b32_e32 v3, v21, v19, vcc_lo
	v_cndmask_b32_e32 v15, v22, v20, vcc_lo
	v_cndmask_b32_e64 v3, v17, v3, s0
	v_cndmask_b32_e64 v15, v18, v15, s0
	v_xor_b32_e32 v3, v3, v14
	v_xor_b32_e32 v15, v15, v14
	v_sub_co_u32 v16, vcc_lo, v3, v14
	v_sub_co_ci_u32_e64 v17, null, v15, v14, vcc_lo
.LBB0_18:                               ;   in Loop: Header=BB0_4 Depth=1
	s_andn2_saveexec_b32 s0, s1
	s_cbranch_execz .LBB0_20
; %bb.19:                               ;   in Loop: Header=BB0_4 Depth=1
	v_cvt_f32_u32_e32 v3, s33
	s_sub_i32 s1, 0, s33
	v_mov_b32_e32 v17, v2
	v_rcp_iflag_f32_e32 v3, v3
	v_mul_f32_e32 v3, 0x4f7ffffe, v3
	v_cvt_u32_f32_e32 v3, v3
	v_mul_lo_u32 v14, s1, v3
	v_mul_hi_u32 v14, v3, v14
	v_add_nc_u32_e32 v3, v3, v14
	v_mul_hi_u32 v3, v6, v3
	v_mul_lo_u32 v14, v3, s33
	v_add_nc_u32_e32 v15, 1, v3
	v_sub_nc_u32_e32 v14, v6, v14
	v_subrev_nc_u32_e32 v16, s33, v14
	v_cmp_le_u32_e32 vcc_lo, s33, v14
	v_cndmask_b32_e32 v14, v14, v16, vcc_lo
	v_cndmask_b32_e32 v3, v3, v15, vcc_lo
	v_cmp_le_u32_e32 vcc_lo, s33, v14
	v_add_nc_u32_e32 v15, 1, v3
	v_cndmask_b32_e32 v16, v3, v15, vcc_lo
.LBB0_20:                               ;   in Loop: Header=BB0_4 Depth=1
	s_or_b32 exec_lo, exec_lo, s0
	v_mul_lo_u32 v3, v11, s18
	v_mul_lo_u32 v11, v10, s19
	v_mad_u64_u32 v[14:15], null, v10, s18, 0
	s_mov_b32 s1, exec_lo
	v_add3_u32 v15, v15, v11, v3
	v_sub_co_u32 v3, vcc_lo, v6, v14
	v_sub_co_ci_u32_e64 v10, null, v7, v15, vcc_lo
	v_add_co_u32 v18, vcc_lo, v3, s38
	v_add_co_ci_u32_e64 v19, null, s39, v10, vcc_lo
	v_mov_b32_e32 v10, 0
	v_mov_b32_e32 v11, 0
	v_cmpx_lt_i64_e64 s[24:25], v[18:19]
	s_cbranch_execz .LBB0_26
; %bb.21:                               ;   in Loop: Header=BB0_4 Depth=1
	v_add_co_u32 v20, vcc_lo, v18, s26
	v_add_co_ci_u32_e64 v21, null, s27, v19, vcc_lo
                                        ; implicit-def: $vgpr10_vgpr11
	s_mov_b32 s0, exec_lo
	v_or_b32_e32 v3, s43, v21
	v_cmpx_ne_u64_e32 0, v[2:3]
	s_xor_b32 s53, exec_lo, s0
	s_cbranch_execz .LBB0_23
; %bb.22:                               ;   in Loop: Header=BB0_4 Depth=1
	s_ashr_i32 s2, s43, 31
	v_ashrrev_i32_e32 v24, 31, v21
	s_add_u32 s54, s42, s2
	s_mov_b32 s3, s2
	s_addc_u32 s55, s43, s2
	s_xor_b64 s[54:55], s[54:55], s[2:3]
	v_add_co_u32 v11, vcc_lo, v20, v24
	v_cvt_f32_u32_e32 v3, s54
	v_cvt_f32_u32_e32 v10, s55
	s_sub_u32 s56, 0, s54
	s_subb_u32 s57, 0, s55
	v_add_co_ci_u32_e64 v20, null, v21, v24, vcc_lo
	v_fmac_f32_e32 v3, 0x4f800000, v10
	v_xor_b32_e32 v25, v20, v24
	v_rcp_f32_e32 v3, v3
	v_mul_f32_e32 v3, 0x5f7ffffc, v3
	v_mul_f32_e32 v10, 0x2f800000, v3
	v_trunc_f32_e32 v10, v10
	v_fmac_f32_e32 v3, 0xcf800000, v10
	v_cvt_u32_f32_e32 v10, v10
	v_cvt_u32_f32_e32 v3, v3
	v_readfirstlane_b32 s0, v10
	v_readfirstlane_b32 s3, v3
	s_mul_i32 s61, s56, s0
	v_xor_b32_e32 v3, v11, v24
	s_mul_hi_u32 s63, s56, s3
	s_mul_i32 s62, s57, s3
	s_add_i32 s61, s63, s61
	s_mul_i32 s64, s56, s3
	s_add_i32 s61, s61, s62
	s_mul_hi_u32 s63, s3, s64
	s_mul_i32 s66, s3, s61
	s_mul_hi_u32 s65, s0, s64
	s_mul_i32 s62, s0, s64
	s_mul_hi_u32 s64, s3, s61
	s_add_u32 s63, s63, s66
	s_addc_u32 s64, 0, s64
	s_mul_hi_u32 s67, s0, s61
	s_add_u32 s62, s63, s62
	s_mul_i32 s61, s0, s61
	s_addc_u32 s62, s64, s65
	s_addc_u32 s63, s67, 0
	s_add_u32 s61, s62, s61
	s_addc_u32 s62, 0, s63
	s_add_u32 s3, s3, s61
	s_cselect_b32 s61, -1, 0
	s_mul_hi_u32 s63, s56, s3
	s_cmp_lg_u32 s61, 0
	s_mul_i32 s61, s56, s3
	s_addc_u32 s0, s0, s62
	s_mul_i32 s57, s57, s3
	s_mul_i32 s56, s56, s0
	s_mul_hi_u32 s62, s3, s61
	s_add_i32 s56, s63, s56
	s_mul_hi_u32 s63, s0, s61
	s_add_i32 s56, s56, s57
	s_mul_i32 s57, s0, s61
	s_mul_i32 s65, s3, s56
	s_mul_hi_u32 s64, s3, s56
	s_add_u32 s62, s62, s65
	s_addc_u32 s64, 0, s64
	s_mul_hi_u32 s61, s0, s56
	s_add_u32 s57, s62, s57
	s_mul_i32 s56, s0, s56
	s_addc_u32 s57, s64, s63
	s_addc_u32 s61, s61, 0
	s_add_u32 s56, s57, s56
	s_addc_u32 s57, 0, s61
	s_add_u32 s3, s3, s56
	s_cselect_b32 s56, -1, 0
	v_mul_hi_u32 v26, v3, s3
	s_cmp_lg_u32 s56, 0
	v_mad_u64_u32 v[20:21], null, v25, s3, 0
	s_addc_u32 s0, s0, s57
	v_mad_u64_u32 v[10:11], null, v3, s0, 0
	v_mad_u64_u32 v[22:23], null, v25, s0, 0
	v_add_co_u32 v10, vcc_lo, v26, v10
	v_add_co_ci_u32_e64 v11, null, 0, v11, vcc_lo
	v_add_co_u32 v10, vcc_lo, v10, v20
	v_add_co_ci_u32_e32 v10, vcc_lo, v11, v21, vcc_lo
	v_add_co_ci_u32_e32 v11, vcc_lo, 0, v23, vcc_lo
	v_add_co_u32 v20, vcc_lo, v10, v22
	v_add_co_ci_u32_e64 v21, null, 0, v11, vcc_lo
	v_mul_lo_u32 v22, s55, v20
	v_mad_u64_u32 v[10:11], null, s54, v20, 0
	v_mul_lo_u32 v23, s54, v21
	v_sub_co_u32 v3, vcc_lo, v3, v10
	v_add3_u32 v11, v11, v23, v22
	v_sub_nc_u32_e32 v22, v25, v11
	v_sub_co_ci_u32_e64 v11, null, v25, v11, vcc_lo
	v_subrev_co_ci_u32_e64 v10, null, s55, v22, vcc_lo
	v_add_co_u32 v22, s0, v20, 2
	v_add_co_ci_u32_e64 v23, null, 0, v21, s0
	v_sub_co_u32 v26, s0, v3, s54
	v_subrev_co_ci_u32_e64 v10, null, 0, v10, s0
	v_cmp_le_u32_e32 vcc_lo, s54, v26
	v_cndmask_b32_e64 v25, 0, -1, vcc_lo
	v_cmp_le_u32_e32 vcc_lo, s55, v10
	v_cndmask_b32_e64 v26, 0, -1, vcc_lo
	;; [unrolled: 2-line block ×4, first 2 shown]
	v_cmp_eq_u32_e32 vcc_lo, s55, v10
	v_cndmask_b32_e32 v10, v26, v25, vcc_lo
	v_add_co_u32 v25, vcc_lo, v20, 1
	v_add_co_ci_u32_e64 v26, null, 0, v21, vcc_lo
	v_cmp_eq_u32_e32 vcc_lo, s55, v11
	v_xor_b32_e32 v11, s2, v24
	v_cndmask_b32_e32 v3, v27, v3, vcc_lo
	v_cmp_ne_u32_e32 vcc_lo, 0, v10
	v_cmp_ne_u32_e64 s0, 0, v3
	v_cndmask_b32_e32 v3, v25, v22, vcc_lo
	v_cndmask_b32_e32 v10, v26, v23, vcc_lo
	v_cndmask_b32_e64 v3, v20, v3, s0
	v_cndmask_b32_e64 v10, v21, v10, s0
	v_xor_b32_e32 v3, v3, v11
	v_xor_b32_e32 v20, v10, v11
	v_sub_co_u32 v10, vcc_lo, v3, v11
	v_sub_co_ci_u32_e64 v11, null, v20, v11, vcc_lo
                                        ; implicit-def: $vgpr20
.LBB0_23:                               ;   in Loop: Header=BB0_4 Depth=1
	s_andn2_saveexec_b32 s0, s53
	s_cbranch_execz .LBB0_25
; %bb.24:                               ;   in Loop: Header=BB0_4 Depth=1
	v_cvt_f32_u32_e32 v3, s42
	s_sub_i32 s2, 0, s42
	v_rcp_iflag_f32_e32 v3, v3
	v_mul_f32_e32 v3, 0x4f7ffffe, v3
	v_cvt_u32_f32_e32 v3, v3
	v_mul_lo_u32 v10, s2, v3
	v_mul_hi_u32 v10, v3, v10
	v_add_nc_u32_e32 v3, v3, v10
	v_mul_hi_u32 v3, v20, v3
	v_mul_lo_u32 v10, v3, s42
	v_add_nc_u32_e32 v11, 1, v3
	v_sub_nc_u32_e32 v10, v20, v10
	v_subrev_nc_u32_e32 v20, s42, v10
	v_cmp_le_u32_e32 vcc_lo, s42, v10
	v_cndmask_b32_e32 v10, v10, v20, vcc_lo
	v_cndmask_b32_e32 v3, v3, v11, vcc_lo
	v_cmp_le_u32_e32 vcc_lo, s42, v10
	v_add_nc_u32_e32 v11, 1, v3
	v_cndmask_b32_e32 v10, v3, v11, vcc_lo
	v_mov_b32_e32 v11, v2
.LBB0_25:                               ;   in Loop: Header=BB0_4 Depth=1
	s_or_b32 exec_lo, exec_lo, s0
	v_add_co_u32 v10, vcc_lo, v10, 1
	v_add_co_ci_u32_e64 v11, null, 0, v11, vcc_lo
.LBB0_26:                               ;   in Loop: Header=BB0_4 Depth=1
	s_or_b32 exec_lo, exec_lo, s1
	v_or_b32_e32 v3, s43, v19
                                        ; implicit-def: $vgpr24_vgpr25
	s_mov_b32 s0, exec_lo
	v_cmpx_ne_u64_e32 0, v[2:3]
	s_xor_b32 s1, exec_lo, s0
	s_cbranch_execz .LBB0_28
; %bb.27:                               ;   in Loop: Header=BB0_4 Depth=1
	s_ashr_i32 s2, s43, 31
	v_ashrrev_i32_e32 v24, 31, v19
	s_add_u32 s54, s42, s2
	s_mov_b32 s3, s2
	s_addc_u32 s55, s43, s2
	s_xor_b64 s[54:55], s[54:55], s[2:3]
	v_add_co_u32 v18, vcc_lo, v18, v24
	v_cvt_f32_u32_e32 v3, s54
	v_cvt_f32_u32_e32 v20, s55
	s_sub_u32 s53, 0, s54
	s_subb_u32 s56, 0, s55
	v_add_co_ci_u32_e64 v19, null, v19, v24, vcc_lo
	v_fmac_f32_e32 v3, 0x4f800000, v20
	v_xor_b32_e32 v25, v19, v24
	v_rcp_f32_e32 v3, v3
	v_mul_f32_e32 v3, 0x5f7ffffc, v3
	v_mul_f32_e32 v20, 0x2f800000, v3
	v_trunc_f32_e32 v20, v20
	v_fmac_f32_e32 v3, 0xcf800000, v20
	v_cvt_u32_f32_e32 v20, v20
	v_cvt_u32_f32_e32 v3, v3
	v_readfirstlane_b32 s0, v20
	v_readfirstlane_b32 s3, v3
	s_mul_i32 s57, s53, s0
	v_xor_b32_e32 v3, v18, v24
	s_mul_hi_u32 s62, s53, s3
	s_mul_i32 s61, s56, s3
	s_add_i32 s57, s62, s57
	s_mul_i32 s63, s53, s3
	s_add_i32 s57, s57, s61
	s_mul_hi_u32 s62, s3, s63
	s_mul_i32 s65, s3, s57
	s_mul_hi_u32 s64, s0, s63
	s_mul_i32 s61, s0, s63
	s_mul_hi_u32 s63, s3, s57
	s_add_u32 s62, s62, s65
	s_addc_u32 s63, 0, s63
	s_mul_hi_u32 s66, s0, s57
	s_add_u32 s61, s62, s61
	s_mul_i32 s57, s0, s57
	s_addc_u32 s61, s63, s64
	s_addc_u32 s62, s66, 0
	s_add_u32 s57, s61, s57
	s_addc_u32 s61, 0, s62
	s_add_u32 s3, s3, s57
	s_cselect_b32 s57, -1, 0
	s_mul_hi_u32 s62, s53, s3
	s_cmp_lg_u32 s57, 0
	s_mul_i32 s57, s53, s3
	s_addc_u32 s0, s0, s61
	s_mul_i32 s56, s56, s3
	s_mul_i32 s53, s53, s0
	s_mul_hi_u32 s61, s3, s57
	s_add_i32 s53, s62, s53
	s_mul_hi_u32 s62, s0, s57
	s_add_i32 s53, s53, s56
	s_mul_i32 s56, s0, s57
	s_mul_i32 s64, s3, s53
	s_mul_hi_u32 s63, s3, s53
	s_add_u32 s61, s61, s64
	s_addc_u32 s63, 0, s63
	s_mul_hi_u32 s57, s0, s53
	s_add_u32 s56, s61, s56
	s_mul_i32 s53, s0, s53
	s_addc_u32 s56, s63, s62
	s_addc_u32 s57, s57, 0
	s_add_u32 s53, s56, s53
	s_addc_u32 s56, 0, s57
	s_add_u32 s3, s3, s53
	s_cselect_b32 s53, -1, 0
	v_mul_hi_u32 v26, v3, s3
	s_cmp_lg_u32 s53, 0
	v_mad_u64_u32 v[20:21], null, v25, s3, 0
	s_addc_u32 s0, s0, s56
	v_mad_u64_u32 v[18:19], null, v3, s0, 0
	v_mad_u64_u32 v[22:23], null, v25, s0, 0
	v_add_co_u32 v18, vcc_lo, v26, v18
	v_add_co_ci_u32_e64 v19, null, 0, v19, vcc_lo
	v_add_co_u32 v18, vcc_lo, v18, v20
	v_add_co_ci_u32_e32 v18, vcc_lo, v19, v21, vcc_lo
	v_add_co_ci_u32_e32 v19, vcc_lo, 0, v23, vcc_lo
	v_add_co_u32 v20, vcc_lo, v18, v22
	v_add_co_ci_u32_e64 v21, null, 0, v19, vcc_lo
	v_mul_lo_u32 v22, s55, v20
	v_mad_u64_u32 v[18:19], null, s54, v20, 0
	v_mul_lo_u32 v23, s54, v21
	v_sub_co_u32 v3, vcc_lo, v3, v18
	v_add3_u32 v19, v19, v23, v22
	v_sub_nc_u32_e32 v22, v25, v19
	v_sub_co_ci_u32_e64 v19, null, v25, v19, vcc_lo
	v_subrev_co_ci_u32_e64 v18, null, s55, v22, vcc_lo
	v_add_co_u32 v22, s0, v20, 2
	v_add_co_ci_u32_e64 v23, null, 0, v21, s0
	v_sub_co_u32 v26, s0, v3, s54
	v_subrev_co_ci_u32_e64 v18, null, 0, v18, s0
	v_cmp_le_u32_e32 vcc_lo, s54, v26
	v_cndmask_b32_e64 v25, 0, -1, vcc_lo
	v_cmp_le_u32_e32 vcc_lo, s55, v18
	v_cndmask_b32_e64 v26, 0, -1, vcc_lo
	;; [unrolled: 2-line block ×4, first 2 shown]
	v_cmp_eq_u32_e32 vcc_lo, s55, v18
	v_cndmask_b32_e32 v18, v26, v25, vcc_lo
	v_add_co_u32 v25, vcc_lo, v20, 1
	v_add_co_ci_u32_e64 v26, null, 0, v21, vcc_lo
	v_cmp_eq_u32_e32 vcc_lo, s55, v19
	v_xor_b32_e32 v19, s2, v24
	v_cndmask_b32_e32 v3, v27, v3, vcc_lo
	v_cmp_ne_u32_e32 vcc_lo, 0, v18
	v_cmp_ne_u32_e64 s0, 0, v3
	v_cndmask_b32_e32 v3, v25, v22, vcc_lo
	v_cndmask_b32_e32 v18, v26, v23, vcc_lo
	v_cndmask_b32_e64 v3, v20, v3, s0
	v_cndmask_b32_e64 v18, v21, v18, s0
	v_xor_b32_e32 v3, v3, v19
	v_xor_b32_e32 v18, v18, v19
	v_sub_co_u32 v24, vcc_lo, v3, v19
	v_sub_co_ci_u32_e64 v25, null, v18, v19, vcc_lo
                                        ; implicit-def: $vgpr18
.LBB0_28:                               ;   in Loop: Header=BB0_4 Depth=1
	s_andn2_saveexec_b32 s0, s1
	s_cbranch_execz .LBB0_30
; %bb.29:                               ;   in Loop: Header=BB0_4 Depth=1
	v_cvt_f32_u32_e32 v3, s42
	s_sub_i32 s1, 0, s42
	v_mov_b32_e32 v25, v2
	v_rcp_iflag_f32_e32 v3, v3
	v_mul_f32_e32 v3, 0x4f7ffffe, v3
	v_cvt_u32_f32_e32 v3, v3
	v_mul_lo_u32 v19, s1, v3
	v_mul_hi_u32 v19, v3, v19
	v_add_nc_u32_e32 v3, v3, v19
	v_mul_hi_u32 v3, v18, v3
	v_mul_lo_u32 v19, v3, s42
	v_sub_nc_u32_e32 v18, v18, v19
	v_add_nc_u32_e32 v19, 1, v3
	v_subrev_nc_u32_e32 v20, s42, v18
	v_cmp_le_u32_e32 vcc_lo, s42, v18
	v_cndmask_b32_e32 v18, v18, v20, vcc_lo
	v_cndmask_b32_e32 v3, v3, v19, vcc_lo
	v_cmp_le_u32_e32 vcc_lo, s42, v18
	v_add_nc_u32_e32 v19, 1, v3
	v_cndmask_b32_e32 v24, v3, v19, vcc_lo
.LBB0_30:                               ;   in Loop: Header=BB0_4 Depth=1
	s_or_b32 exec_lo, exec_lo, s0
	v_add_co_u32 v12, vcc_lo, v12, s36
	v_mov_b32_e32 v18, 0
	v_add_co_ci_u32_e64 v13, null, s37, v13, vcc_lo
	v_mov_b32_e32 v19, 0
	s_mov_b32 s1, exec_lo
	v_cmpx_lt_i64_e64 s[30:31], v[12:13]
	s_cbranch_execz .LBB0_36
; %bb.31:                               ;   in Loop: Header=BB0_4 Depth=1
	v_add_co_u32 v20, vcc_lo, v12, s34
	v_add_co_ci_u32_e64 v21, null, s35, v13, vcc_lo
                                        ; implicit-def: $vgpr18_vgpr19
	s_mov_b32 s0, exec_lo
	v_or_b32_e32 v3, s41, v21
	v_cmpx_ne_u64_e32 0, v[2:3]
	s_xor_b32 s53, exec_lo, s0
	s_cbranch_execz .LBB0_33
; %bb.32:                               ;   in Loop: Header=BB0_4 Depth=1
	s_ashr_i32 s2, s41, 31
	v_ashrrev_i32_e32 v26, 31, v21
	s_add_u32 s54, s40, s2
	s_mov_b32 s3, s2
	s_addc_u32 s55, s41, s2
	s_xor_b64 s[54:55], s[54:55], s[2:3]
	v_add_co_u32 v19, vcc_lo, v20, v26
	v_cvt_f32_u32_e32 v3, s54
	v_cvt_f32_u32_e32 v18, s55
	s_sub_u32 s56, 0, s54
	s_subb_u32 s57, 0, s55
	v_add_co_ci_u32_e64 v20, null, v21, v26, vcc_lo
	v_fmac_f32_e32 v3, 0x4f800000, v18
	v_xor_b32_e32 v27, v20, v26
	v_rcp_f32_e32 v3, v3
	v_mul_f32_e32 v3, 0x5f7ffffc, v3
	v_mul_f32_e32 v18, 0x2f800000, v3
	v_trunc_f32_e32 v18, v18
	v_fmac_f32_e32 v3, 0xcf800000, v18
	v_cvt_u32_f32_e32 v18, v18
	v_cvt_u32_f32_e32 v3, v3
	v_readfirstlane_b32 s0, v18
	v_readfirstlane_b32 s3, v3
	s_mul_i32 s61, s56, s0
	v_xor_b32_e32 v3, v19, v26
	s_mul_hi_u32 s63, s56, s3
	s_mul_i32 s62, s57, s3
	s_add_i32 s61, s63, s61
	s_mul_i32 s64, s56, s3
	s_add_i32 s61, s61, s62
	s_mul_hi_u32 s63, s3, s64
	s_mul_i32 s66, s3, s61
	s_mul_hi_u32 s65, s0, s64
	s_mul_i32 s62, s0, s64
	s_mul_hi_u32 s64, s3, s61
	s_add_u32 s63, s63, s66
	s_addc_u32 s64, 0, s64
	s_mul_hi_u32 s67, s0, s61
	s_add_u32 s62, s63, s62
	s_mul_i32 s61, s0, s61
	s_addc_u32 s62, s64, s65
	s_addc_u32 s63, s67, 0
	s_add_u32 s61, s62, s61
	s_addc_u32 s62, 0, s63
	s_add_u32 s3, s3, s61
	s_cselect_b32 s61, -1, 0
	s_mul_hi_u32 s63, s56, s3
	s_cmp_lg_u32 s61, 0
	s_mul_i32 s61, s56, s3
	s_addc_u32 s0, s0, s62
	s_mul_i32 s57, s57, s3
	s_mul_i32 s56, s56, s0
	s_mul_hi_u32 s62, s3, s61
	s_add_i32 s56, s63, s56
	s_mul_hi_u32 s63, s0, s61
	s_add_i32 s56, s56, s57
	s_mul_i32 s57, s0, s61
	s_mul_i32 s65, s3, s56
	s_mul_hi_u32 s64, s3, s56
	s_add_u32 s62, s62, s65
	s_addc_u32 s64, 0, s64
	s_mul_hi_u32 s61, s0, s56
	s_add_u32 s57, s62, s57
	s_mul_i32 s56, s0, s56
	s_addc_u32 s57, s64, s63
	s_addc_u32 s61, s61, 0
	s_add_u32 s56, s57, s56
	s_addc_u32 s57, 0, s61
	s_add_u32 s3, s3, s56
	s_cselect_b32 s56, -1, 0
	v_mul_hi_u32 v28, v3, s3
	s_cmp_lg_u32 s56, 0
	v_mad_u64_u32 v[20:21], null, v27, s3, 0
	s_addc_u32 s0, s0, s57
	v_mad_u64_u32 v[18:19], null, v3, s0, 0
	v_mad_u64_u32 v[22:23], null, v27, s0, 0
	v_add_co_u32 v18, vcc_lo, v28, v18
	v_add_co_ci_u32_e64 v19, null, 0, v19, vcc_lo
	v_add_co_u32 v18, vcc_lo, v18, v20
	v_add_co_ci_u32_e32 v18, vcc_lo, v19, v21, vcc_lo
	v_add_co_ci_u32_e32 v19, vcc_lo, 0, v23, vcc_lo
	v_add_co_u32 v20, vcc_lo, v18, v22
	v_add_co_ci_u32_e64 v21, null, 0, v19, vcc_lo
	v_mul_lo_u32 v22, s55, v20
	v_mad_u64_u32 v[18:19], null, s54, v20, 0
	v_mul_lo_u32 v23, s54, v21
	v_sub_co_u32 v3, vcc_lo, v3, v18
	v_add3_u32 v19, v19, v23, v22
	v_sub_nc_u32_e32 v22, v27, v19
	v_sub_co_ci_u32_e64 v19, null, v27, v19, vcc_lo
	v_subrev_co_ci_u32_e64 v18, null, s55, v22, vcc_lo
	v_add_co_u32 v22, s0, v20, 2
	v_add_co_ci_u32_e64 v23, null, 0, v21, s0
	v_sub_co_u32 v28, s0, v3, s54
	v_subrev_co_ci_u32_e64 v18, null, 0, v18, s0
	v_cmp_le_u32_e32 vcc_lo, s54, v28
	v_cndmask_b32_e64 v27, 0, -1, vcc_lo
	v_cmp_le_u32_e32 vcc_lo, s55, v18
	v_cndmask_b32_e64 v28, 0, -1, vcc_lo
	;; [unrolled: 2-line block ×4, first 2 shown]
	v_cmp_eq_u32_e32 vcc_lo, s55, v18
	v_cndmask_b32_e32 v18, v28, v27, vcc_lo
	v_add_co_u32 v27, vcc_lo, v20, 1
	v_add_co_ci_u32_e64 v28, null, 0, v21, vcc_lo
	v_cmp_eq_u32_e32 vcc_lo, s55, v19
	v_xor_b32_e32 v19, s2, v26
	v_cndmask_b32_e32 v3, v29, v3, vcc_lo
	v_cmp_ne_u32_e32 vcc_lo, 0, v18
	v_cmp_ne_u32_e64 s0, 0, v3
	v_cndmask_b32_e32 v3, v27, v22, vcc_lo
	v_cndmask_b32_e32 v18, v28, v23, vcc_lo
	v_cndmask_b32_e64 v3, v20, v3, s0
	v_cndmask_b32_e64 v18, v21, v18, s0
	v_xor_b32_e32 v3, v3, v19
	v_xor_b32_e32 v20, v18, v19
	v_sub_co_u32 v18, vcc_lo, v3, v19
	v_sub_co_ci_u32_e64 v19, null, v20, v19, vcc_lo
                                        ; implicit-def: $vgpr20
.LBB0_33:                               ;   in Loop: Header=BB0_4 Depth=1
	s_andn2_saveexec_b32 s0, s53
	s_cbranch_execz .LBB0_35
; %bb.34:                               ;   in Loop: Header=BB0_4 Depth=1
	v_cvt_f32_u32_e32 v3, s40
	s_sub_i32 s2, 0, s40
	v_rcp_iflag_f32_e32 v3, v3
	v_mul_f32_e32 v3, 0x4f7ffffe, v3
	v_cvt_u32_f32_e32 v3, v3
	v_mul_lo_u32 v18, s2, v3
	v_mul_hi_u32 v18, v3, v18
	v_add_nc_u32_e32 v3, v3, v18
	v_mul_hi_u32 v3, v20, v3
	v_mul_lo_u32 v18, v3, s40
	v_add_nc_u32_e32 v19, 1, v3
	v_sub_nc_u32_e32 v18, v20, v18
	v_subrev_nc_u32_e32 v20, s40, v18
	v_cmp_le_u32_e32 vcc_lo, s40, v18
	v_cndmask_b32_e32 v18, v18, v20, vcc_lo
	v_cndmask_b32_e32 v3, v3, v19, vcc_lo
	v_cmp_le_u32_e32 vcc_lo, s40, v18
	v_add_nc_u32_e32 v19, 1, v3
	v_cndmask_b32_e32 v18, v3, v19, vcc_lo
	v_mov_b32_e32 v19, v2
.LBB0_35:                               ;   in Loop: Header=BB0_4 Depth=1
	s_or_b32 exec_lo, exec_lo, s0
	v_add_co_u32 v18, vcc_lo, v18, 1
	v_add_co_ci_u32_e64 v19, null, 0, v19, vcc_lo
.LBB0_36:                               ;   in Loop: Header=BB0_4 Depth=1
	s_or_b32 exec_lo, exec_lo, s1
	v_or_b32_e32 v3, s41, v13
                                        ; implicit-def: $vgpr20_vgpr21
	s_mov_b32 s0, exec_lo
	v_cmpx_ne_u64_e32 0, v[2:3]
	s_xor_b32 s1, exec_lo, s0
	s_cbranch_execz .LBB0_38
; %bb.37:                               ;   in Loop: Header=BB0_4 Depth=1
	s_ashr_i32 s2, s41, 31
	v_ashrrev_i32_e32 v28, 31, v13
	s_add_u32 s54, s40, s2
	s_mov_b32 s3, s2
	s_addc_u32 s55, s41, s2
	s_xor_b64 s[54:55], s[54:55], s[2:3]
	v_add_co_u32 v21, vcc_lo, v12, v28
	v_cvt_f32_u32_e32 v3, s54
	v_cvt_f32_u32_e32 v20, s55
	s_sub_u32 s53, 0, s54
	s_subb_u32 s56, 0, s55
	v_add_co_ci_u32_e64 v22, null, v13, v28, vcc_lo
	v_fmac_f32_e32 v3, 0x4f800000, v20
	v_xor_b32_e32 v29, v22, v28
	v_rcp_f32_e32 v3, v3
	v_mul_f32_e32 v3, 0x5f7ffffc, v3
	v_mul_f32_e32 v20, 0x2f800000, v3
	v_trunc_f32_e32 v20, v20
	v_fmac_f32_e32 v3, 0xcf800000, v20
	v_cvt_u32_f32_e32 v20, v20
	v_cvt_u32_f32_e32 v3, v3
	v_readfirstlane_b32 s0, v20
	v_readfirstlane_b32 s3, v3
	s_mul_i32 s57, s53, s0
	v_xor_b32_e32 v3, v21, v28
	s_mul_hi_u32 s62, s53, s3
	s_mul_i32 s61, s56, s3
	s_add_i32 s57, s62, s57
	s_mul_i32 s63, s53, s3
	s_add_i32 s57, s57, s61
	s_mul_hi_u32 s62, s3, s63
	s_mul_i32 s65, s3, s57
	s_mul_hi_u32 s64, s0, s63
	s_mul_i32 s61, s0, s63
	s_mul_hi_u32 s63, s3, s57
	s_add_u32 s62, s62, s65
	s_addc_u32 s63, 0, s63
	s_mul_hi_u32 s66, s0, s57
	s_add_u32 s61, s62, s61
	s_mul_i32 s57, s0, s57
	s_addc_u32 s61, s63, s64
	s_addc_u32 s62, s66, 0
	s_add_u32 s57, s61, s57
	s_addc_u32 s61, 0, s62
	s_add_u32 s3, s3, s57
	s_cselect_b32 s57, -1, 0
	s_mul_hi_u32 s62, s53, s3
	s_cmp_lg_u32 s57, 0
	s_mul_i32 s57, s53, s3
	s_addc_u32 s0, s0, s61
	s_mul_i32 s56, s56, s3
	s_mul_i32 s53, s53, s0
	s_mul_hi_u32 s61, s3, s57
	s_add_i32 s53, s62, s53
	s_mul_hi_u32 s62, s0, s57
	s_add_i32 s53, s53, s56
	s_mul_i32 s56, s0, s57
	s_mul_i32 s64, s3, s53
	s_mul_hi_u32 s63, s3, s53
	s_add_u32 s61, s61, s64
	s_addc_u32 s63, 0, s63
	s_mul_hi_u32 s57, s0, s53
	s_add_u32 s56, s61, s56
	s_mul_i32 s53, s0, s53
	s_addc_u32 s56, s63, s62
	s_addc_u32 s57, s57, 0
	s_add_u32 s53, s56, s53
	s_addc_u32 s56, 0, s57
	s_add_u32 s3, s3, s53
	s_cselect_b32 s53, -1, 0
	v_mul_hi_u32 v30, v3, s3
	s_cmp_lg_u32 s53, 0
	v_mad_u64_u32 v[22:23], null, v29, s3, 0
	s_addc_u32 s0, s0, s56
	v_mad_u64_u32 v[20:21], null, v3, s0, 0
	v_mad_u64_u32 v[26:27], null, v29, s0, 0
	v_add_co_u32 v20, vcc_lo, v30, v20
	v_add_co_ci_u32_e64 v21, null, 0, v21, vcc_lo
	v_add_co_u32 v20, vcc_lo, v20, v22
	v_add_co_ci_u32_e32 v20, vcc_lo, v21, v23, vcc_lo
	v_add_co_ci_u32_e32 v21, vcc_lo, 0, v27, vcc_lo
	v_add_co_u32 v22, vcc_lo, v20, v26
	v_add_co_ci_u32_e64 v23, null, 0, v21, vcc_lo
	v_mul_lo_u32 v26, s55, v22
	v_mad_u64_u32 v[20:21], null, s54, v22, 0
	v_mul_lo_u32 v27, s54, v23
	v_sub_co_u32 v3, vcc_lo, v3, v20
	v_add3_u32 v21, v21, v27, v26
	v_sub_nc_u32_e32 v26, v29, v21
	v_sub_co_ci_u32_e64 v21, null, v29, v21, vcc_lo
	v_subrev_co_ci_u32_e64 v20, null, s55, v26, vcc_lo
	v_add_co_u32 v26, s0, v22, 2
	v_add_co_ci_u32_e64 v27, null, 0, v23, s0
	v_sub_co_u32 v30, s0, v3, s54
	v_subrev_co_ci_u32_e64 v20, null, 0, v20, s0
	v_cmp_le_u32_e32 vcc_lo, s54, v30
	v_cndmask_b32_e64 v29, 0, -1, vcc_lo
	v_cmp_le_u32_e32 vcc_lo, s55, v20
	v_cndmask_b32_e64 v30, 0, -1, vcc_lo
	;; [unrolled: 2-line block ×4, first 2 shown]
	v_cmp_eq_u32_e32 vcc_lo, s55, v20
	v_cndmask_b32_e32 v20, v30, v29, vcc_lo
	v_add_co_u32 v29, vcc_lo, v22, 1
	v_add_co_ci_u32_e64 v30, null, 0, v23, vcc_lo
	v_cmp_eq_u32_e32 vcc_lo, s55, v21
	v_xor_b32_e32 v21, s2, v28
	v_cndmask_b32_e32 v3, v31, v3, vcc_lo
	v_cmp_ne_u32_e32 vcc_lo, 0, v20
	v_cmp_ne_u32_e64 s0, 0, v3
	v_cndmask_b32_e32 v3, v29, v26, vcc_lo
	v_cndmask_b32_e32 v20, v30, v27, vcc_lo
	v_cndmask_b32_e64 v3, v22, v3, s0
	v_cndmask_b32_e64 v20, v23, v20, s0
	v_xor_b32_e32 v3, v3, v21
	v_xor_b32_e32 v22, v20, v21
	v_sub_co_u32 v20, vcc_lo, v3, v21
	v_sub_co_ci_u32_e64 v21, null, v22, v21, vcc_lo
.LBB0_38:                               ;   in Loop: Header=BB0_4 Depth=1
	s_andn2_saveexec_b32 s0, s1
	s_cbranch_execz .LBB0_40
; %bb.39:                               ;   in Loop: Header=BB0_4 Depth=1
	v_cvt_f32_u32_e32 v3, s40
	s_sub_i32 s1, 0, s40
	v_rcp_iflag_f32_e32 v3, v3
	v_mul_f32_e32 v3, 0x4f7ffffe, v3
	v_cvt_u32_f32_e32 v3, v3
	v_mul_lo_u32 v20, s1, v3
	v_mul_hi_u32 v20, v3, v20
	v_add_nc_u32_e32 v3, v3, v20
	v_mul_hi_u32 v3, v12, v3
	v_mul_lo_u32 v20, v3, s40
	v_add_nc_u32_e32 v21, 1, v3
	v_sub_nc_u32_e32 v20, v12, v20
	v_subrev_nc_u32_e32 v22, s40, v20
	v_cmp_le_u32_e32 vcc_lo, s40, v20
	v_cndmask_b32_e32 v20, v20, v22, vcc_lo
	v_cndmask_b32_e32 v3, v3, v21, vcc_lo
	v_cmp_le_u32_e32 vcc_lo, s40, v20
	v_add_nc_u32_e32 v21, 1, v3
	v_cndmask_b32_e32 v20, v3, v21, vcc_lo
	v_mov_b32_e32 v21, v2
.LBB0_40:                               ;   in Loop: Header=BB0_4 Depth=1
	s_or_b32 exec_lo, exec_lo, s0
	v_add_co_u32 v20, vcc_lo, v20, 1
	v_add_co_ci_u32_e64 v21, null, 0, v21, vcc_lo
	v_mov_b32_e32 v22, 0
	v_mov_b32_e32 v23, 0
	s_mov_b32 s53, exec_lo
	v_cmp_gt_i64_e32 vcc_lo, s[48:49], v[20:21]
	v_cndmask_b32_e32 v21, s49, v21, vcc_lo
	v_cndmask_b32_e32 v20, s48, v20, vcc_lo
	v_cmpx_lt_i64_e64 v[18:19], v[20:21]
	s_cbranch_execz .LBB0_3
; %bb.41:                               ;   in Loop: Header=BB0_4 Depth=1
	v_add_co_u32 v22, vcc_lo, v24, 1
	v_add_co_ci_u32_e64 v23, null, 0, v25, vcc_lo
	v_lshlrev_b64 v[26:27], 3, v[10:11]
	v_mul_lo_u32 v3, v17, s20
	v_mul_lo_u32 v28, v16, s21
	v_cmp_gt_i64_e32 vcc_lo, s[50:51], v[22:23]
	v_mad_u64_u32 v[16:17], null, v16, s20, 0
	v_mul_lo_u32 v31, s43, v10
	v_mul_lo_u32 v32, s42, v11
	;; [unrolled: 1-line block ×3, first 2 shown]
	v_cndmask_b32_e32 v25, s51, v23, vcc_lo
	v_cndmask_b32_e32 v24, s50, v22, vcc_lo
	v_mad_u64_u32 v[22:23], null, s42, v10, 0
	v_mul_lo_u32 v30, s13, v4
	v_mad_u64_u32 v[26:27], null, s12, v4, v[26:27]
	v_add3_u32 v17, v17, v28, v3
	v_add_co_u32 v3, vcc_lo, s38, v0
	v_add_co_ci_u32_e64 v28, null, s39, v1, vcc_lo
	v_add3_u32 v23, v23, v32, v31
	v_add3_u32 v27, v30, v27, v29
	v_sub_co_u32 v3, vcc_lo, v3, v22
	v_cmp_lt_i64_e64 s0, v[10:11], v[24:25]
	v_sub_co_ci_u32_e64 v22, null, v28, v23, vcc_lo
	v_add_co_u32 v26, vcc_lo, s10, v26
	v_add_co_ci_u32_e64 v27, null, s11, v27, vcc_lo
	v_sub_co_u32 v3, vcc_lo, v3, v14
	v_sub_co_ci_u32_e64 v14, null, v22, v15, vcc_lo
	v_mov_b32_e32 v22, 0
	v_sub_co_u32 v8, vcc_lo, v3, v8
	v_mov_b32_e32 v23, 0
	v_sub_co_ci_u32_e64 v9, null, v14, v9, vcc_lo
	s_mov_b32 s61, 0
	s_branch .LBB0_44
.LBB0_42:                               ;   in Loop: Header=BB0_44 Depth=2
	s_or_b32 exec_lo, exec_lo, s3
.LBB0_43:                               ;   in Loop: Header=BB0_44 Depth=2
	s_or_b32 exec_lo, exec_lo, s62
	v_add_co_u32 v18, vcc_lo, v18, 1
	v_add_co_ci_u32_e64 v19, null, 0, v19, vcc_lo
	v_cmp_ge_i64_e32 vcc_lo, v[18:19], v[20:21]
	s_or_b32 s61, vcc_lo, s61
	s_andn2_b32 exec_lo, exec_lo, s61
	s_cbranch_execz .LBB0_2
.LBB0_44:                               ;   Parent Loop BB0_4 Depth=1
                                        ; =>  This Loop Header: Depth=2
                                        ;       Child Loop BB0_52 Depth 3
	s_and_saveexec_b32 s62, s0
	s_cbranch_execz .LBB0_43
; %bb.45:                               ;   in Loop: Header=BB0_44 Depth=2
	v_mul_lo_u32 v3, v19, s40
	v_mul_lo_u32 v28, v18, s41
	v_mad_u64_u32 v[14:15], null, v18, s40, 0
	s_mov_b32 s1, exec_lo
	v_add3_u32 v3, v15, v28, v3
	v_sub_co_u32 v28, vcc_lo, v12, v14
                                        ; implicit-def: $vgpr14_vgpr15
	v_sub_co_ci_u32_e64 v29, null, v13, v3, vcc_lo
	v_or_b32_e32 v3, s45, v29
	v_cmpx_ne_u64_e32 0, v[2:3]
	s_xor_b32 s56, exec_lo, s1
	s_cbranch_execz .LBB0_47
; %bb.46:                               ;   in Loop: Header=BB0_44 Depth=2
	s_ashr_i32 s2, s45, 31
	v_ashrrev_i32_e32 v34, 31, v29
	s_add_u32 s54, s44, s2
	s_mov_b32 s3, s2
	s_addc_u32 s55, s45, s2
	s_xor_b64 s[54:55], s[54:55], s[2:3]
	v_add_co_u32 v15, vcc_lo, v28, v34
	v_cvt_f32_u32_e32 v3, s54
	v_cvt_f32_u32_e32 v14, s55
	s_sub_u32 s57, 0, s54
	s_subb_u32 s63, 0, s55
	v_add_co_ci_u32_e64 v30, null, v29, v34, vcc_lo
	v_fmac_f32_e32 v3, 0x4f800000, v14
	v_xor_b32_e32 v35, v30, v34
	v_rcp_f32_e32 v3, v3
	v_mul_f32_e32 v3, 0x5f7ffffc, v3
	v_mul_f32_e32 v14, 0x2f800000, v3
	v_trunc_f32_e32 v14, v14
	v_fmac_f32_e32 v3, 0xcf800000, v14
	v_cvt_u32_f32_e32 v14, v14
	v_cvt_u32_f32_e32 v3, v3
	v_readfirstlane_b32 s1, v14
	v_readfirstlane_b32 s3, v3
	s_mul_i32 s64, s57, s1
	v_xor_b32_e32 v3, v15, v34
	s_mul_hi_u32 s66, s57, s3
	s_mul_i32 s65, s63, s3
	s_add_i32 s64, s66, s64
	s_mul_i32 s67, s57, s3
	s_add_i32 s64, s64, s65
	s_mul_hi_u32 s66, s3, s67
	s_mul_i32 s69, s3, s64
	s_mul_hi_u32 s68, s1, s67
	s_mul_i32 s65, s1, s67
	s_mul_hi_u32 s67, s3, s64
	s_add_u32 s66, s66, s69
	s_addc_u32 s67, 0, s67
	s_mul_hi_u32 s70, s1, s64
	s_add_u32 s65, s66, s65
	s_mul_i32 s64, s1, s64
	s_addc_u32 s65, s67, s68
	s_addc_u32 s66, s70, 0
	s_add_u32 s64, s65, s64
	s_addc_u32 s65, 0, s66
	s_add_u32 s3, s3, s64
	s_cselect_b32 s64, -1, 0
	s_mul_hi_u32 s66, s57, s3
	s_cmp_lg_u32 s64, 0
	s_mul_i32 s64, s57, s3
	s_addc_u32 s1, s1, s65
	s_mul_i32 s63, s63, s3
	s_mul_i32 s57, s57, s1
	s_mul_hi_u32 s65, s3, s64
	s_add_i32 s57, s66, s57
	s_mul_hi_u32 s66, s1, s64
	s_add_i32 s57, s57, s63
	s_mul_i32 s63, s1, s64
	s_mul_i32 s68, s3, s57
	s_mul_hi_u32 s67, s3, s57
	s_add_u32 s65, s65, s68
	s_addc_u32 s67, 0, s67
	s_mul_hi_u32 s64, s1, s57
	s_add_u32 s63, s65, s63
	s_mul_i32 s57, s1, s57
	s_addc_u32 s63, s67, s66
	s_addc_u32 s64, s64, 0
	s_add_u32 s57, s63, s57
	s_addc_u32 s63, 0, s64
	s_add_u32 s3, s3, s57
	s_cselect_b32 s57, -1, 0
	v_mul_hi_u32 v37, v3, s3
	s_cmp_lg_u32 s57, 0
	v_mad_u64_u32 v[30:31], null, v35, s3, 0
	s_addc_u32 s1, s1, s63
	v_mad_u64_u32 v[14:15], null, v3, s1, 0
	v_mad_u64_u32 v[32:33], null, v35, s1, 0
	v_add_co_u32 v14, vcc_lo, v37, v14
	v_add_co_ci_u32_e64 v15, null, 0, v15, vcc_lo
	v_add_co_u32 v14, vcc_lo, v14, v30
	v_add_co_ci_u32_e32 v14, vcc_lo, v15, v31, vcc_lo
	v_add_co_ci_u32_e32 v15, vcc_lo, 0, v33, vcc_lo
	v_add_co_u32 v30, vcc_lo, v14, v32
	v_add_co_ci_u32_e64 v31, null, 0, v15, vcc_lo
	v_mul_lo_u32 v32, s55, v30
	v_mad_u64_u32 v[14:15], null, s54, v30, 0
	v_mul_lo_u32 v33, s54, v31
	v_sub_co_u32 v3, vcc_lo, v3, v14
	v_add3_u32 v15, v15, v33, v32
	v_sub_nc_u32_e32 v32, v35, v15
	v_sub_co_ci_u32_e64 v15, null, v35, v15, vcc_lo
	v_subrev_co_ci_u32_e64 v14, null, s55, v32, vcc_lo
	v_add_co_u32 v32, s1, v30, 2
	v_add_co_ci_u32_e64 v33, null, 0, v31, s1
	v_sub_co_u32 v37, s1, v3, s54
	v_subrev_co_ci_u32_e64 v14, null, 0, v14, s1
	v_cmp_le_u32_e32 vcc_lo, s54, v37
	v_cndmask_b32_e64 v35, 0, -1, vcc_lo
	v_cmp_le_u32_e32 vcc_lo, s55, v14
	v_cndmask_b32_e64 v37, 0, -1, vcc_lo
	;; [unrolled: 2-line block ×4, first 2 shown]
	v_cmp_eq_u32_e32 vcc_lo, s55, v14
	v_cndmask_b32_e32 v14, v37, v35, vcc_lo
	v_add_co_u32 v35, vcc_lo, v30, 1
	v_add_co_ci_u32_e64 v37, null, 0, v31, vcc_lo
	v_cmp_eq_u32_e32 vcc_lo, s55, v15
	v_xor_b32_e32 v15, s2, v34
	v_cndmask_b32_e32 v3, v38, v3, vcc_lo
	v_cmp_ne_u32_e32 vcc_lo, 0, v14
	v_cmp_ne_u32_e64 s1, 0, v3
	v_cndmask_b32_e32 v3, v35, v32, vcc_lo
	v_cndmask_b32_e32 v14, v37, v33, vcc_lo
	v_cndmask_b32_e64 v3, v30, v3, s1
	v_cndmask_b32_e64 v14, v31, v14, s1
	v_xor_b32_e32 v3, v3, v15
	v_xor_b32_e32 v30, v14, v15
	v_sub_co_u32 v14, vcc_lo, v3, v15
	v_sub_co_ci_u32_e64 v15, null, v30, v15, vcc_lo
.LBB0_47:                               ;   in Loop: Header=BB0_44 Depth=2
	s_andn2_saveexec_b32 s1, s56
	s_cbranch_execz .LBB0_49
; %bb.48:                               ;   in Loop: Header=BB0_44 Depth=2
	v_cvt_f32_u32_e32 v3, s44
	s_sub_i32 s2, 0, s44
	v_rcp_iflag_f32_e32 v3, v3
	v_mul_f32_e32 v3, 0x4f7ffffe, v3
	v_cvt_u32_f32_e32 v3, v3
	v_mul_lo_u32 v14, s2, v3
	v_mul_hi_u32 v14, v3, v14
	v_add_nc_u32_e32 v3, v3, v14
	v_mul_hi_u32 v3, v28, v3
	v_mul_lo_u32 v14, v3, s44
	v_add_nc_u32_e32 v15, 1, v3
	v_sub_nc_u32_e32 v14, v28, v14
	v_subrev_nc_u32_e32 v30, s44, v14
	v_cmp_le_u32_e32 vcc_lo, s44, v14
	v_cndmask_b32_e32 v14, v14, v30, vcc_lo
	v_cndmask_b32_e32 v3, v3, v15, vcc_lo
	v_cmp_le_u32_e32 vcc_lo, s44, v14
	v_add_nc_u32_e32 v15, 1, v3
	v_cndmask_b32_e32 v14, v3, v15, vcc_lo
	v_mov_b32_e32 v15, v2
.LBB0_49:                               ;   in Loop: Header=BB0_44 Depth=2
	s_or_b32 exec_lo, exec_lo, s1
	v_mul_lo_u32 v3, v15, s44
	v_mul_lo_u32 v32, v14, s45
	v_mad_u64_u32 v[30:31], null, v14, s44, 0
	v_add_co_u32 v14, vcc_lo, v14, v16
	v_add_co_ci_u32_e64 v15, null, v15, v17, vcc_lo
	s_mov_b32 s3, 0
	v_add3_u32 v3, v31, v32, v3
	v_mul_lo_u32 v31, v15, s22
	v_mul_lo_u32 v32, v14, s23
	v_mad_u64_u32 v[14:15], null, v14, s22, 0
	v_sub_co_u32 v28, vcc_lo, v28, v30
	v_sub_co_ci_u32_e64 v29, null, v29, v3, vcc_lo
	v_add3_u32 v15, v15, v32, v31
	v_cmp_eq_u64_e64 s1, 0, v[28:29]
	v_mov_b32_e32 v29, v9
	v_mov_b32_e32 v31, v27
	;; [unrolled: 1-line block ×6, first 2 shown]
	s_branch .LBB0_52
.LBB0_50:                               ;   in Loop: Header=BB0_52 Depth=3
	s_or_b32 exec_lo, exec_lo, s2
.LBB0_51:                               ;   in Loop: Header=BB0_52 Depth=3
	s_or_b32 exec_lo, exec_lo, s63
	v_add_co_u32 v32, vcc_lo, v32, 1
	v_add_co_ci_u32_e64 v33, null, 0, v33, vcc_lo
	v_add_co_u32 v30, vcc_lo, v30, 8
	v_add_co_ci_u32_e64 v31, null, 0, v31, vcc_lo
	v_cmp_ge_i64_e32 vcc_lo, v[32:33], v[24:25]
	v_sub_co_u32 v28, s2, v28, s42
	v_subrev_co_ci_u32_e64 v29, null, s43, v29, s2
	s_or_b32 s3, vcc_lo, s3
	s_andn2_b32 exec_lo, exec_lo, s3
	s_cbranch_execz .LBB0_42
.LBB0_52:                               ;   Parent Loop BB0_4 Depth=1
                                        ;     Parent Loop BB0_44 Depth=2
                                        ; =>    This Inner Loop Header: Depth=3
	s_and_saveexec_b32 s63, s1
	s_cbranch_execz .LBB0_51
; %bb.53:                               ;   in Loop: Header=BB0_52 Depth=3
	v_or_b32_e32 v3, s47, v29
                                        ; implicit-def: $vgpr34_vgpr35
	s_mov_b32 s2, exec_lo
	v_cmpx_ne_u64_e32 0, v[2:3]
	s_xor_b32 s64, exec_lo, s2
	s_cbranch_execz .LBB0_55
; %bb.54:                               ;   in Loop: Header=BB0_52 Depth=3
	s_ashr_i32 s54, s47, 31
	v_ashrrev_i32_e32 v41, 31, v29
	s_add_u32 s56, s46, s54
	s_mov_b32 s55, s54
	s_addc_u32 s57, s47, s54
	s_xor_b64 s[56:57], s[56:57], s[54:55]
	v_add_co_u32 v35, vcc_lo, v28, v41
	v_cvt_f32_u32_e32 v3, s56
	v_cvt_f32_u32_e32 v34, s57
	s_sub_u32 s65, 0, s56
	s_subb_u32 s66, 0, s57
	v_add_co_ci_u32_e64 v37, null, v29, v41, vcc_lo
	v_fmac_f32_e32 v3, 0x4f800000, v34
	v_xor_b32_e32 v42, v37, v41
	v_rcp_f32_e32 v3, v3
	v_mul_f32_e32 v3, 0x5f7ffffc, v3
	v_mul_f32_e32 v34, 0x2f800000, v3
	v_trunc_f32_e32 v34, v34
	v_fmac_f32_e32 v3, 0xcf800000, v34
	v_cvt_u32_f32_e32 v34, v34
	v_cvt_u32_f32_e32 v3, v3
	v_readfirstlane_b32 s2, v34
	v_readfirstlane_b32 s55, v3
	s_mul_i32 s67, s65, s2
	v_xor_b32_e32 v3, v35, v41
	s_mul_hi_u32 s69, s65, s55
	s_mul_i32 s68, s66, s55
	s_add_i32 s67, s69, s67
	s_mul_i32 s70, s65, s55
	s_add_i32 s67, s67, s68
	s_mul_hi_u32 s69, s55, s70
	s_mul_i32 s72, s55, s67
	s_mul_hi_u32 s71, s2, s70
	s_mul_i32 s68, s2, s70
	s_mul_hi_u32 s70, s55, s67
	s_add_u32 s69, s69, s72
	s_addc_u32 s70, 0, s70
	s_mul_hi_u32 s73, s2, s67
	s_add_u32 s68, s69, s68
	s_mul_i32 s67, s2, s67
	s_addc_u32 s68, s70, s71
	s_addc_u32 s69, s73, 0
	s_add_u32 s67, s68, s67
	s_addc_u32 s68, 0, s69
	s_add_u32 s55, s55, s67
	s_cselect_b32 s67, -1, 0
	s_mul_hi_u32 s69, s65, s55
	s_cmp_lg_u32 s67, 0
	s_mul_i32 s67, s65, s55
	s_addc_u32 s2, s2, s68
	s_mul_i32 s66, s66, s55
	s_mul_i32 s65, s65, s2
	s_mul_hi_u32 s68, s55, s67
	s_add_i32 s65, s69, s65
	s_mul_hi_u32 s69, s2, s67
	s_add_i32 s65, s65, s66
	s_mul_i32 s66, s2, s67
	s_mul_i32 s71, s55, s65
	s_mul_hi_u32 s70, s55, s65
	s_add_u32 s68, s68, s71
	s_addc_u32 s70, 0, s70
	s_mul_hi_u32 s67, s2, s65
	s_add_u32 s66, s68, s66
	s_mul_i32 s65, s2, s65
	s_addc_u32 s66, s70, s69
	s_addc_u32 s67, s67, 0
	s_add_u32 s65, s66, s65
	s_addc_u32 s66, 0, s67
	s_add_u32 s55, s55, s65
	s_cselect_b32 s65, -1, 0
	v_mul_hi_u32 v43, v3, s55
	s_cmp_lg_u32 s65, 0
	v_mad_u64_u32 v[37:38], null, v42, s55, 0
	s_addc_u32 s2, s2, s66
	v_mad_u64_u32 v[34:35], null, v3, s2, 0
	v_mad_u64_u32 v[39:40], null, v42, s2, 0
	v_add_co_u32 v34, vcc_lo, v43, v34
	v_add_co_ci_u32_e64 v35, null, 0, v35, vcc_lo
	v_add_co_u32 v34, vcc_lo, v34, v37
	v_add_co_ci_u32_e32 v34, vcc_lo, v35, v38, vcc_lo
	v_add_co_ci_u32_e32 v35, vcc_lo, 0, v40, vcc_lo
	v_add_co_u32 v37, vcc_lo, v34, v39
	v_add_co_ci_u32_e64 v38, null, 0, v35, vcc_lo
	v_mul_lo_u32 v39, s57, v37
	v_mad_u64_u32 v[34:35], null, s56, v37, 0
	v_mul_lo_u32 v40, s56, v38
	v_sub_co_u32 v3, vcc_lo, v3, v34
	v_add3_u32 v35, v35, v40, v39
	v_sub_nc_u32_e32 v39, v42, v35
	v_sub_co_ci_u32_e64 v35, null, v42, v35, vcc_lo
	v_subrev_co_ci_u32_e64 v34, null, s57, v39, vcc_lo
	v_add_co_u32 v39, s2, v37, 2
	v_add_co_ci_u32_e64 v40, null, 0, v38, s2
	v_sub_co_u32 v43, s2, v3, s56
	v_subrev_co_ci_u32_e64 v34, null, 0, v34, s2
	v_cmp_le_u32_e32 vcc_lo, s56, v43
	v_cndmask_b32_e64 v42, 0, -1, vcc_lo
	v_cmp_le_u32_e32 vcc_lo, s57, v34
	v_cndmask_b32_e64 v43, 0, -1, vcc_lo
	;; [unrolled: 2-line block ×4, first 2 shown]
	v_cmp_eq_u32_e32 vcc_lo, s57, v34
	v_cndmask_b32_e32 v34, v43, v42, vcc_lo
	v_add_co_u32 v42, vcc_lo, v37, 1
	v_add_co_ci_u32_e64 v43, null, 0, v38, vcc_lo
	v_cmp_eq_u32_e32 vcc_lo, s57, v35
	v_xor_b32_e32 v35, s54, v41
	v_cndmask_b32_e32 v3, v44, v3, vcc_lo
	v_cmp_ne_u32_e32 vcc_lo, 0, v34
	v_cmp_ne_u32_e64 s2, 0, v3
	v_cndmask_b32_e32 v3, v42, v39, vcc_lo
	v_cndmask_b32_e32 v34, v43, v40, vcc_lo
	v_cndmask_b32_e64 v3, v37, v3, s2
	v_cndmask_b32_e64 v34, v38, v34, s2
	v_xor_b32_e32 v3, v3, v35
	v_xor_b32_e32 v37, v34, v35
	v_sub_co_u32 v34, vcc_lo, v3, v35
	v_sub_co_ci_u32_e64 v35, null, v37, v35, vcc_lo
.LBB0_55:                               ;   in Loop: Header=BB0_52 Depth=3
	s_andn2_saveexec_b32 s2, s64
	s_cbranch_execz .LBB0_57
; %bb.56:                               ;   in Loop: Header=BB0_52 Depth=3
	v_cvt_f32_u32_e32 v3, s46
	s_sub_i32 s54, 0, s46
	v_rcp_iflag_f32_e32 v3, v3
	v_mul_f32_e32 v3, 0x4f7ffffe, v3
	v_cvt_u32_f32_e32 v3, v3
	v_mul_lo_u32 v34, s54, v3
	v_mul_hi_u32 v34, v3, v34
	v_add_nc_u32_e32 v3, v3, v34
	v_mul_hi_u32 v3, v28, v3
	v_mul_lo_u32 v34, v3, s46
	v_add_nc_u32_e32 v35, 1, v3
	v_sub_nc_u32_e32 v34, v28, v34
	v_subrev_nc_u32_e32 v37, s46, v34
	v_cmp_le_u32_e32 vcc_lo, s46, v34
	v_cndmask_b32_e32 v34, v34, v37, vcc_lo
	v_cndmask_b32_e32 v3, v3, v35, vcc_lo
	v_cmp_le_u32_e32 vcc_lo, s46, v34
	v_add_nc_u32_e32 v35, 1, v3
	v_cndmask_b32_e32 v34, v3, v35, vcc_lo
	v_mov_b32_e32 v35, v2
.LBB0_57:                               ;   in Loop: Header=BB0_52 Depth=3
	s_or_b32 exec_lo, exec_lo, s2
	v_mul_lo_u32 v3, v35, s46
	v_mul_lo_u32 v39, v34, s47
	v_mad_u64_u32 v[37:38], null, v34, s46, 0
	s_mov_b32 s2, exec_lo
	v_add3_u32 v3, v38, v39, v3
	v_sub_co_u32 v37, vcc_lo, v28, v37
	v_sub_co_ci_u32_e64 v38, null, v29, v3, vcc_lo
	v_cmpx_eq_u64_e32 0, v[37:38]
	s_cbranch_execz .LBB0_50
; %bb.58:                               ;   in Loop: Header=BB0_52 Depth=3
	v_add_co_u32 v3, vcc_lo, v14, v34
	v_add_co_ci_u32_e64 v34, null, v15, v35, vcc_lo
	v_mul_lo_u32 v37, v3, s49
	v_mul_lo_u32 v38, v34, s48
	v_mad_u64_u32 v[34:35], null, v3, s48, v[18:19]
	v_add3_u32 v3, v38, v35, v37
	v_mul_lo_u32 v37, s29, v34
	v_mad_u64_u32 v[34:35], null, s28, v34, v[30:31]
	v_mul_lo_u32 v3, s28, v3
	v_add3_u32 v35, v37, v35, v3
	global_load_dwordx2 v[34:35], v[34:35], off
	s_waitcnt vmcnt(0)
	v_add_f64 v[22:23], v[22:23], v[34:35]
	s_branch .LBB0_50
.LBB0_59:
	s_endpgm
	.section	.rodata,"a",@progbits
	.p2align	6, 0x0
	.amdhsa_kernel _ZN2at6native21col2im_batched_kernelIdEEvlPKT_llllllllllllllPS2_l
		.amdhsa_group_segment_fixed_size 0
		.amdhsa_private_segment_fixed_size 0
		.amdhsa_kernarg_size 400
		.amdhsa_user_sgpr_count 6
		.amdhsa_user_sgpr_private_segment_buffer 1
		.amdhsa_user_sgpr_dispatch_ptr 0
		.amdhsa_user_sgpr_queue_ptr 0
		.amdhsa_user_sgpr_kernarg_segment_ptr 1
		.amdhsa_user_sgpr_dispatch_id 0
		.amdhsa_user_sgpr_flat_scratch_init 0
		.amdhsa_user_sgpr_private_segment_size 0
		.amdhsa_wavefront_size32 1
		.amdhsa_uses_dynamic_stack 0
		.amdhsa_system_sgpr_private_segment_wavefront_offset 0
		.amdhsa_system_sgpr_workgroup_id_x 1
		.amdhsa_system_sgpr_workgroup_id_y 0
		.amdhsa_system_sgpr_workgroup_id_z 0
		.amdhsa_system_sgpr_workgroup_info 0
		.amdhsa_system_vgpr_workitem_id 0
		.amdhsa_next_free_vgpr 45
		.amdhsa_next_free_sgpr 74
		.amdhsa_reserve_vcc 1
		.amdhsa_reserve_flat_scratch 0
		.amdhsa_float_round_mode_32 0
		.amdhsa_float_round_mode_16_64 0
		.amdhsa_float_denorm_mode_32 3
		.amdhsa_float_denorm_mode_16_64 3
		.amdhsa_dx10_clamp 1
		.amdhsa_ieee_mode 1
		.amdhsa_fp16_overflow 0
		.amdhsa_workgroup_processor_mode 1
		.amdhsa_memory_ordered 1
		.amdhsa_forward_progress 1
		.amdhsa_shared_vgpr_count 0
		.amdhsa_exception_fp_ieee_invalid_op 0
		.amdhsa_exception_fp_denorm_src 0
		.amdhsa_exception_fp_ieee_div_zero 0
		.amdhsa_exception_fp_ieee_overflow 0
		.amdhsa_exception_fp_ieee_underflow 0
		.amdhsa_exception_fp_ieee_inexact 0
		.amdhsa_exception_int_div_zero 0
	.end_amdhsa_kernel
	.section	.text._ZN2at6native21col2im_batched_kernelIdEEvlPKT_llllllllllllllPS2_l,"axG",@progbits,_ZN2at6native21col2im_batched_kernelIdEEvlPKT_llllllllllllllPS2_l,comdat
.Lfunc_end0:
	.size	_ZN2at6native21col2im_batched_kernelIdEEvlPKT_llllllllllllllPS2_l, .Lfunc_end0-_ZN2at6native21col2im_batched_kernelIdEEvlPKT_llllllllllllllPS2_l
                                        ; -- End function
	.set _ZN2at6native21col2im_batched_kernelIdEEvlPKT_llllllllllllllPS2_l.num_vgpr, 45
	.set _ZN2at6native21col2im_batched_kernelIdEEvlPKT_llllllllllllllPS2_l.num_agpr, 0
	.set _ZN2at6native21col2im_batched_kernelIdEEvlPKT_llllllllllllllPS2_l.numbered_sgpr, 74
	.set _ZN2at6native21col2im_batched_kernelIdEEvlPKT_llllllllllllllPS2_l.num_named_barrier, 0
	.set _ZN2at6native21col2im_batched_kernelIdEEvlPKT_llllllllllllllPS2_l.private_seg_size, 0
	.set _ZN2at6native21col2im_batched_kernelIdEEvlPKT_llllllllllllllPS2_l.uses_vcc, 1
	.set _ZN2at6native21col2im_batched_kernelIdEEvlPKT_llllllllllllllPS2_l.uses_flat_scratch, 0
	.set _ZN2at6native21col2im_batched_kernelIdEEvlPKT_llllllllllllllPS2_l.has_dyn_sized_stack, 0
	.set _ZN2at6native21col2im_batched_kernelIdEEvlPKT_llllllllllllllPS2_l.has_recursion, 0
	.set _ZN2at6native21col2im_batched_kernelIdEEvlPKT_llllllllllllllPS2_l.has_indirect_call, 0
	.section	.AMDGPU.csdata,"",@progbits
; Kernel info:
; codeLenInByte = 8972
; TotalNumSgprs: 76
; NumVgprs: 45
; ScratchSize: 0
; MemoryBound: 0
; FloatMode: 240
; IeeeMode: 1
; LDSByteSize: 0 bytes/workgroup (compile time only)
; SGPRBlocks: 0
; VGPRBlocks: 5
; NumSGPRsForWavesPerEU: 76
; NumVGPRsForWavesPerEU: 45
; Occupancy: 16
; WaveLimiterHint : 0
; COMPUTE_PGM_RSRC2:SCRATCH_EN: 0
; COMPUTE_PGM_RSRC2:USER_SGPR: 6
; COMPUTE_PGM_RSRC2:TRAP_HANDLER: 0
; COMPUTE_PGM_RSRC2:TGID_X_EN: 1
; COMPUTE_PGM_RSRC2:TGID_Y_EN: 0
; COMPUTE_PGM_RSRC2:TGID_Z_EN: 0
; COMPUTE_PGM_RSRC2:TIDIG_COMP_CNT: 0
	.section	.text._ZN2at6native21col2im_batched_kernelIfEEvlPKT_llllllllllllllPS2_l,"axG",@progbits,_ZN2at6native21col2im_batched_kernelIfEEvlPKT_llllllllllllllPS2_l,comdat
	.protected	_ZN2at6native21col2im_batched_kernelIfEEvlPKT_llllllllllllllPS2_l ; -- Begin function _ZN2at6native21col2im_batched_kernelIfEEvlPKT_llllllllllllllPS2_l
	.globl	_ZN2at6native21col2im_batched_kernelIfEEvlPKT_llllllllllllllPS2_l
	.p2align	8
	.type	_ZN2at6native21col2im_batched_kernelIfEEvlPKT_llllllllllllllPS2_l,@function
_ZN2at6native21col2im_batched_kernelIfEEvlPKT_llllllllllllllPS2_l: ; @_ZN2at6native21col2im_batched_kernelIfEEvlPKT_llllllllllllllPS2_l
; %bb.0:
	s_clause 0x1
	s_load_dwordx16 s[8:23], s[4:5], 0x0
	s_load_dword s2, s[4:5], 0x9c
	v_mov_b32_e32 v2, 0
	v_mov_b32_e32 v1, v2
	s_waitcnt lgkmcnt(0)
	s_mul_i32 s0, s14, s9
	s_mul_hi_u32 s1, s14, s8
	s_mul_i32 s3, s15, s8
	s_add_i32 s0, s1, s0
	s_mul_i32 s14, s14, s8
	s_add_i32 s15, s0, s3
	s_add_u32 s0, s4, 0x90
	s_addc_u32 s1, s5, 0
	s_and_b32 s2, s2, 0xffff
	s_mov_b32 s3, exec_lo
	v_mad_u64_u32 v[0:1], null, s2, s6, v[0:1]
	v_cmpx_gt_i64_e64 s[14:15], v[0:1]
	s_cbranch_execz .LBB1_59
; %bb.1:
	s_load_dwordx16 s[36:51], s[4:5], 0x40
	s_load_dword s0, s[0:1], 0x0
	v_cvt_f32_u32_e32 v3, s8
	s_mul_i32 s1, s18, s17
	s_mul_hi_u32 s3, s18, s16
	s_mul_i32 s24, s19, s16
	s_add_i32 s1, s3, s1
	s_load_dwordx4 s[4:7], s[4:5], 0x80
	v_rcp_iflag_f32_e32 v3, v3
	s_add_i32 s59, s1, s24
	s_add_u32 s1, s22, -1
	s_addc_u32 s3, s23, -1
	s_mul_i32 s33, s18, s16
	s_mov_b32 s58, 0
	v_mul_f32_e32 v3, 0x4f7ffffe, v3
	s_waitcnt lgkmcnt(0)
	s_mul_i32 s3, s46, s3
	s_mul_hi_u32 s25, s46, s1
	s_mul_i32 s26, s47, s1
	s_mul_i32 s60, s0, s2
	s_add_i32 s0, s25, s3
	s_mul_i32 s24, s46, s1
	s_add_i32 s25, s0, s26
	s_add_u32 s0, s20, -1
	s_addc_u32 s1, s21, -1
	s_mul_hi_u32 s2, s44, s0
	s_mul_i32 s1, s44, s1
	s_mul_i32 s3, s45, s0
	s_add_i32 s1, s2, s1
	v_cvt_u32_f32_e32 v34, v3
	s_mul_i32 s30, s44, s0
	s_add_i32 s31, s1, s3
	s_not_b64 s[26:27], s[24:25]
	s_lshl_b64 s[28:29], s[50:51], 2
	s_lshl_b64 s[12:13], s[12:13], 2
	s_not_b64 s[34:35], s[30:31]
	s_ashr_i32 s52, s9, 31
	s_branch .LBB1_4
.LBB1_2:                                ;   in Loop: Header=BB1_4 Depth=1
	s_or_b32 exec_lo, exec_lo, s61
.LBB1_3:                                ;   in Loop: Header=BB1_4 Depth=1
	s_or_b32 exec_lo, exec_lo, s53
	v_mul_lo_u32 v5, v5, s6
	v_mul_lo_u32 v8, v4, s7
	v_mad_u64_u32 v[3:4], null, v4, s6, 0
	v_add_co_u32 v0, vcc_lo, v0, s60
	v_add_co_ci_u32_e64 v1, null, 0, v1, vcc_lo
	v_add3_u32 v4, v4, v8, v5
	v_lshlrev_b64 v[5:6], 2, v[6:7]
	v_lshlrev_b64 v[3:4], 2, v[3:4]
	v_add_co_u32 v3, vcc_lo, s4, v3
	v_add_co_ci_u32_e64 v4, null, s5, v4, vcc_lo
	v_cmp_le_i64_e32 vcc_lo, s[14:15], v[0:1]
	v_add_co_u32 v3, s0, v3, v5
	v_add_co_ci_u32_e64 v4, null, v4, v6, s0
	s_or_b32 s58, vcc_lo, s58
	global_store_dword v[3:4], v35, off
	s_andn2_b32 exec_lo, exec_lo, s58
	s_cbranch_execz .LBB1_59
.LBB1_4:                                ; =>This Loop Header: Depth=1
                                        ;     Child Loop BB1_44 Depth 2
                                        ;       Child Loop BB1_52 Depth 3
	v_or_b32_e32 v3, s9, v1
                                        ; implicit-def: $vgpr4_vgpr5
	s_mov_b32 s0, exec_lo
	v_cmpx_ne_u64_e32 0, v[2:3]
	s_xor_b32 s1, exec_lo, s0
	s_cbranch_execz .LBB1_6
; %bb.5:                                ;   in Loop: Header=BB1_4 Depth=1
	s_add_u32 s2, s8, s52
	s_mov_b32 s53, s52
	s_addc_u32 s3, s9, s52
	v_ashrrev_i32_e32 v9, 31, v1
	s_xor_b64 s[2:3], s[2:3], s[52:53]
	v_cvt_f32_u32_e32 v3, s2
	v_cvt_f32_u32_e32 v4, s3
	s_sub_u32 s0, 0, s2
	s_subb_u32 s55, 0, s3
	v_add_co_u32 v5, vcc_lo, v0, v9
	v_fmac_f32_e32 v3, 0x4f800000, v4
	v_xor_b32_e32 v10, v5, v9
	v_rcp_f32_e32 v3, v3
	v_mul_f32_e32 v3, 0x5f7ffffc, v3
	v_mul_f32_e32 v4, 0x2f800000, v3
	v_trunc_f32_e32 v4, v4
	v_fmac_f32_e32 v3, 0xcf800000, v4
	v_cvt_u32_f32_e32 v4, v4
	v_cvt_u32_f32_e32 v3, v3
	v_readfirstlane_b32 s53, v4
	v_readfirstlane_b32 s54, v3
	s_mul_i32 s56, s0, s53
	v_add_co_ci_u32_e64 v3, null, v1, v9, vcc_lo
	s_mul_hi_u32 s61, s0, s54
	s_mul_i32 s57, s55, s54
	s_add_i32 s56, s61, s56
	s_mul_i32 s62, s0, s54
	s_add_i32 s56, s56, s57
	s_mul_hi_u32 s61, s54, s62
	s_mul_i32 s64, s54, s56
	s_mul_hi_u32 s63, s53, s62
	s_mul_i32 s57, s53, s62
	s_mul_hi_u32 s62, s54, s56
	s_add_u32 s61, s61, s64
	s_addc_u32 s62, 0, s62
	s_mul_hi_u32 s65, s53, s56
	s_add_u32 s57, s61, s57
	s_mul_i32 s56, s53, s56
	s_addc_u32 s57, s62, s63
	s_addc_u32 s61, s65, 0
	s_add_u32 s56, s57, s56
	s_addc_u32 s57, 0, s61
	s_add_u32 s54, s54, s56
	s_cselect_b32 s56, -1, 0
	s_mul_hi_u32 s61, s0, s54
	s_cmp_lg_u32 s56, 0
	s_mul_i32 s56, s0, s54
	s_addc_u32 s53, s53, s57
	s_mul_i32 s55, s55, s54
	s_mul_i32 s0, s0, s53
	s_mul_hi_u32 s57, s54, s56
	s_add_i32 s0, s61, s0
	s_mul_hi_u32 s61, s53, s56
	s_add_i32 s0, s0, s55
	s_mul_i32 s55, s53, s56
	s_mul_i32 s63, s54, s0
	s_mul_hi_u32 s62, s54, s0
	s_add_u32 s57, s57, s63
	s_addc_u32 s62, 0, s62
	s_mul_hi_u32 s56, s53, s0
	s_add_u32 s55, s57, s55
	s_mul_i32 s0, s53, s0
	s_addc_u32 s55, s62, s61
	s_addc_u32 s56, s56, 0
	s_add_u32 s0, s55, s0
	s_addc_u32 s55, 0, s56
	s_add_u32 s0, s54, s0
	s_cselect_b32 s54, -1, 0
	v_xor_b32_e32 v11, v3, v9
	s_cmp_lg_u32 s54, 0
	v_mul_hi_u32 v12, v10, s0
	s_addc_u32 s53, s53, s55
	v_mad_u64_u32 v[3:4], null, v10, s53, 0
	v_mad_u64_u32 v[5:6], null, v11, s0, 0
	;; [unrolled: 1-line block ×3, first 2 shown]
	v_add_co_u32 v3, vcc_lo, v12, v3
	v_add_co_ci_u32_e64 v4, null, 0, v4, vcc_lo
	v_add_co_u32 v3, vcc_lo, v3, v5
	v_add_co_ci_u32_e32 v3, vcc_lo, v4, v6, vcc_lo
	v_add_co_ci_u32_e32 v4, vcc_lo, 0, v8, vcc_lo
	v_add_co_u32 v5, vcc_lo, v3, v7
	v_add_co_ci_u32_e64 v6, null, 0, v4, vcc_lo
	v_mul_lo_u32 v7, s3, v5
	v_mad_u64_u32 v[3:4], null, s2, v5, 0
	v_mul_lo_u32 v8, s2, v6
	v_sub_co_u32 v3, vcc_lo, v10, v3
	v_add3_u32 v4, v4, v8, v7
	v_add_co_u32 v8, s0, v5, 2
	v_add_co_ci_u32_e64 v10, null, 0, v6, s0
	v_sub_nc_u32_e32 v7, v11, v4
	v_sub_co_u32 v12, s0, v3, s2
	v_sub_co_ci_u32_e64 v4, null, v11, v4, vcc_lo
	v_subrev_co_ci_u32_e64 v7, null, s3, v7, vcc_lo
	v_cmp_le_u32_e32 vcc_lo, s2, v12
	v_subrev_co_ci_u32_e64 v7, null, 0, v7, s0
	v_cndmask_b32_e64 v11, 0, -1, vcc_lo
	v_cmp_le_u32_e32 vcc_lo, s3, v7
	v_cndmask_b32_e64 v12, 0, -1, vcc_lo
	v_cmp_le_u32_e32 vcc_lo, s2, v3
	;; [unrolled: 2-line block ×3, first 2 shown]
	v_cndmask_b32_e64 v13, 0, -1, vcc_lo
	v_cmp_eq_u32_e32 vcc_lo, s3, v7
	v_cndmask_b32_e32 v7, v12, v11, vcc_lo
	v_add_co_u32 v11, vcc_lo, v5, 1
	v_add_co_ci_u32_e64 v12, null, 0, v6, vcc_lo
	v_cmp_eq_u32_e32 vcc_lo, s3, v4
	v_cndmask_b32_e32 v3, v13, v3, vcc_lo
	v_cmp_ne_u32_e32 vcc_lo, 0, v7
	v_xor_b32_e32 v7, s52, v9
	v_cmp_ne_u32_e64 s0, 0, v3
	v_cndmask_b32_e32 v3, v11, v8, vcc_lo
	v_cndmask_b32_e32 v4, v12, v10, vcc_lo
	v_cndmask_b32_e64 v3, v5, v3, s0
	v_cndmask_b32_e64 v4, v6, v4, s0
	v_xor_b32_e32 v3, v3, v7
	v_xor_b32_e32 v5, v4, v7
	v_sub_co_u32 v4, vcc_lo, v3, v7
	v_sub_co_ci_u32_e64 v5, null, v5, v7, vcc_lo
.LBB1_6:                                ;   in Loop: Header=BB1_4 Depth=1
	s_andn2_saveexec_b32 s0, s1
	s_cbranch_execz .LBB1_8
; %bb.7:                                ;   in Loop: Header=BB1_4 Depth=1
	s_sub_i32 s1, 0, s8
	v_mul_lo_u32 v3, s1, v34
	v_mul_hi_u32 v3, v34, v3
	v_add_nc_u32_e32 v3, v34, v3
	v_mul_hi_u32 v3, v0, v3
	v_mul_lo_u32 v4, v3, s8
	v_add_nc_u32_e32 v5, 1, v3
	v_sub_nc_u32_e32 v4, v0, v4
	v_subrev_nc_u32_e32 v6, s8, v4
	v_cmp_le_u32_e32 vcc_lo, s8, v4
	v_cndmask_b32_e32 v4, v4, v6, vcc_lo
	v_cndmask_b32_e32 v3, v3, v5, vcc_lo
	v_cmp_le_u32_e32 vcc_lo, s8, v4
	v_add_nc_u32_e32 v5, 1, v3
	v_cndmask_b32_e32 v4, v3, v5, vcc_lo
	v_mov_b32_e32 v5, v2
.LBB1_8:                                ;   in Loop: Header=BB1_4 Depth=1
	s_or_b32 exec_lo, exec_lo, s0
	v_mul_lo_u32 v3, v5, s8
	v_mul_lo_u32 v6, v4, s9
	v_mad_u64_u32 v[8:9], null, v4, s8, 0
                                        ; implicit-def: $vgpr10_vgpr11
	s_mov_b32 s0, exec_lo
	v_add3_u32 v9, v9, v6, v3
	v_sub_co_u32 v6, vcc_lo, v0, v8
	v_sub_co_ci_u32_e64 v7, null, v1, v9, vcc_lo
	v_or_b32_e32 v3, s19, v7
	v_ashrrev_i32_e32 v16, 31, v7
	v_cmpx_ne_u64_e32 0, v[2:3]
	s_xor_b32 s1, exec_lo, s0
	s_cbranch_execz .LBB1_10
; %bb.9:                                ;   in Loop: Header=BB1_4 Depth=1
	s_ashr_i32 s2, s19, 31
	v_add_co_u32 v11, vcc_lo, v6, v16
	s_add_u32 s54, s18, s2
	s_mov_b32 s3, s2
	s_addc_u32 s55, s19, s2
	v_add_co_ci_u32_e64 v12, null, v7, v16, vcc_lo
	s_xor_b64 s[54:55], s[54:55], s[2:3]
	v_cvt_f32_u32_e32 v3, s54
	v_cvt_f32_u32_e32 v10, s55
	s_sub_u32 s53, 0, s54
	s_subb_u32 s56, 0, s55
	v_xor_b32_e32 v17, v12, v16
	v_fmac_f32_e32 v3, 0x4f800000, v10
	v_rcp_f32_e32 v3, v3
	v_mul_f32_e32 v3, 0x5f7ffffc, v3
	v_mul_f32_e32 v10, 0x2f800000, v3
	v_trunc_f32_e32 v10, v10
	v_fmac_f32_e32 v3, 0xcf800000, v10
	v_cvt_u32_f32_e32 v10, v10
	v_cvt_u32_f32_e32 v3, v3
	v_readfirstlane_b32 s0, v10
	v_readfirstlane_b32 s3, v3
	s_mul_i32 s57, s53, s0
	v_xor_b32_e32 v3, v11, v16
	s_mul_hi_u32 s62, s53, s3
	s_mul_i32 s61, s56, s3
	s_add_i32 s57, s62, s57
	s_mul_i32 s63, s53, s3
	s_add_i32 s57, s57, s61
	s_mul_hi_u32 s62, s3, s63
	s_mul_i32 s65, s3, s57
	s_mul_hi_u32 s64, s0, s63
	s_mul_i32 s61, s0, s63
	s_mul_hi_u32 s63, s3, s57
	s_add_u32 s62, s62, s65
	s_addc_u32 s63, 0, s63
	s_mul_hi_u32 s66, s0, s57
	s_add_u32 s61, s62, s61
	s_mul_i32 s57, s0, s57
	s_addc_u32 s61, s63, s64
	s_addc_u32 s62, s66, 0
	s_add_u32 s57, s61, s57
	s_addc_u32 s61, 0, s62
	s_add_u32 s3, s3, s57
	s_cselect_b32 s57, -1, 0
	s_mul_hi_u32 s62, s53, s3
	s_cmp_lg_u32 s57, 0
	s_mul_i32 s57, s53, s3
	s_addc_u32 s0, s0, s61
	s_mul_i32 s56, s56, s3
	s_mul_i32 s53, s53, s0
	s_mul_hi_u32 s61, s3, s57
	s_add_i32 s53, s62, s53
	s_mul_hi_u32 s62, s0, s57
	s_add_i32 s53, s53, s56
	s_mul_i32 s56, s0, s57
	s_mul_i32 s64, s3, s53
	s_mul_hi_u32 s63, s3, s53
	s_add_u32 s61, s61, s64
	s_addc_u32 s63, 0, s63
	s_mul_hi_u32 s57, s0, s53
	s_add_u32 s56, s61, s56
	s_mul_i32 s53, s0, s53
	s_addc_u32 s56, s63, s62
	s_addc_u32 s57, s57, 0
	s_add_u32 s53, s56, s53
	s_addc_u32 s56, 0, s57
	s_add_u32 s3, s3, s53
	s_cselect_b32 s53, -1, 0
	v_mul_hi_u32 v18, v3, s3
	s_cmp_lg_u32 s53, 0
	v_mad_u64_u32 v[12:13], null, v17, s3, 0
	s_addc_u32 s0, s0, s56
	v_mad_u64_u32 v[10:11], null, v3, s0, 0
	v_mad_u64_u32 v[14:15], null, v17, s0, 0
	v_add_co_u32 v10, vcc_lo, v18, v10
	v_add_co_ci_u32_e64 v11, null, 0, v11, vcc_lo
	v_add_co_u32 v10, vcc_lo, v10, v12
	v_add_co_ci_u32_e32 v10, vcc_lo, v11, v13, vcc_lo
	v_add_co_ci_u32_e32 v11, vcc_lo, 0, v15, vcc_lo
	v_add_co_u32 v12, vcc_lo, v10, v14
	v_add_co_ci_u32_e64 v13, null, 0, v11, vcc_lo
	v_mul_lo_u32 v14, s55, v12
	v_mad_u64_u32 v[10:11], null, s54, v12, 0
	v_mul_lo_u32 v15, s54, v13
	v_sub_co_u32 v3, vcc_lo, v3, v10
	v_add3_u32 v11, v11, v15, v14
	v_sub_nc_u32_e32 v14, v17, v11
	v_sub_co_ci_u32_e64 v11, null, v17, v11, vcc_lo
	v_subrev_co_ci_u32_e64 v10, null, s55, v14, vcc_lo
	v_add_co_u32 v14, s0, v12, 2
	v_add_co_ci_u32_e64 v15, null, 0, v13, s0
	v_sub_co_u32 v18, s0, v3, s54
	v_subrev_co_ci_u32_e64 v10, null, 0, v10, s0
	v_cmp_le_u32_e32 vcc_lo, s54, v18
	v_cndmask_b32_e64 v17, 0, -1, vcc_lo
	v_cmp_le_u32_e32 vcc_lo, s55, v10
	v_cndmask_b32_e64 v18, 0, -1, vcc_lo
	;; [unrolled: 2-line block ×4, first 2 shown]
	v_cmp_eq_u32_e32 vcc_lo, s55, v10
	v_cndmask_b32_e32 v10, v18, v17, vcc_lo
	v_add_co_u32 v17, vcc_lo, v12, 1
	v_add_co_ci_u32_e64 v18, null, 0, v13, vcc_lo
	v_cmp_eq_u32_e32 vcc_lo, s55, v11
	v_xor_b32_e32 v11, s2, v16
	v_cndmask_b32_e32 v3, v19, v3, vcc_lo
	v_cmp_ne_u32_e32 vcc_lo, 0, v10
	v_cmp_ne_u32_e64 s0, 0, v3
	v_cndmask_b32_e32 v3, v17, v14, vcc_lo
	v_cndmask_b32_e32 v10, v18, v15, vcc_lo
	v_cndmask_b32_e64 v3, v12, v3, s0
	v_cndmask_b32_e64 v10, v13, v10, s0
	v_xor_b32_e32 v3, v3, v11
	v_xor_b32_e32 v12, v10, v11
	v_sub_co_u32 v10, vcc_lo, v3, v11
	v_sub_co_ci_u32_e64 v11, null, v12, v11, vcc_lo
.LBB1_10:                               ;   in Loop: Header=BB1_4 Depth=1
	s_andn2_saveexec_b32 s0, s1
	s_cbranch_execz .LBB1_12
; %bb.11:                               ;   in Loop: Header=BB1_4 Depth=1
	v_cvt_f32_u32_e32 v3, s18
	s_sub_i32 s1, 0, s18
	v_rcp_iflag_f32_e32 v3, v3
	v_mul_f32_e32 v3, 0x4f7ffffe, v3
	v_cvt_u32_f32_e32 v3, v3
	v_mul_lo_u32 v10, s1, v3
	v_mul_hi_u32 v10, v3, v10
	v_add_nc_u32_e32 v3, v3, v10
	v_mul_hi_u32 v3, v6, v3
	v_mul_lo_u32 v10, v3, s18
	v_add_nc_u32_e32 v11, 1, v3
	v_sub_nc_u32_e32 v10, v6, v10
	v_subrev_nc_u32_e32 v12, s18, v10
	v_cmp_le_u32_e32 vcc_lo, s18, v10
	v_cndmask_b32_e32 v10, v10, v12, vcc_lo
	v_cndmask_b32_e32 v3, v3, v11, vcc_lo
	v_cmp_le_u32_e32 vcc_lo, s18, v10
	v_add_nc_u32_e32 v11, 1, v3
	v_cndmask_b32_e32 v10, v3, v11, vcc_lo
	v_mov_b32_e32 v11, v2
.LBB1_12:                               ;   in Loop: Header=BB1_4 Depth=1
	s_or_b32 exec_lo, exec_lo, s0
	v_or_b32_e32 v3, s17, v11
                                        ; implicit-def: $vgpr12_vgpr13
	s_mov_b32 s0, exec_lo
	v_cmpx_ne_u64_e32 0, v[2:3]
	s_xor_b32 s1, exec_lo, s0
	s_cbranch_execz .LBB1_14
; %bb.13:                               ;   in Loop: Header=BB1_4 Depth=1
	s_ashr_i32 s2, s17, 31
	v_ashrrev_i32_e32 v19, 31, v11
	s_add_u32 s54, s16, s2
	s_mov_b32 s3, s2
	s_addc_u32 s55, s17, s2
	s_xor_b64 s[2:3], s[54:55], s[2:3]
	v_add_co_u32 v13, vcc_lo, v10, v19
	v_cvt_f32_u32_e32 v3, s2
	v_cvt_f32_u32_e32 v12, s3
	s_sub_u32 s54, 0, s2
	s_subb_u32 s55, 0, s3
	v_add_co_ci_u32_e64 v14, null, v11, v19, vcc_lo
	v_fmac_f32_e32 v3, 0x4f800000, v12
	v_xor_b32_e32 v20, v14, v19
	v_rcp_f32_e32 v3, v3
	v_mul_f32_e32 v3, 0x5f7ffffc, v3
	v_mul_f32_e32 v12, 0x2f800000, v3
	v_trunc_f32_e32 v12, v12
	v_fmac_f32_e32 v3, 0xcf800000, v12
	v_cvt_u32_f32_e32 v12, v12
	v_cvt_u32_f32_e32 v3, v3
	v_readfirstlane_b32 s0, v12
	v_readfirstlane_b32 s53, v3
	s_mul_i32 s56, s54, s0
	v_xor_b32_e32 v3, v13, v19
	s_mul_hi_u32 s61, s54, s53
	s_mul_i32 s57, s55, s53
	s_add_i32 s56, s61, s56
	s_mul_i32 s62, s54, s53
	s_add_i32 s56, s56, s57
	s_mul_hi_u32 s61, s53, s62
	s_mul_i32 s64, s53, s56
	s_mul_hi_u32 s63, s0, s62
	s_mul_i32 s57, s0, s62
	s_mul_hi_u32 s62, s53, s56
	s_add_u32 s61, s61, s64
	s_addc_u32 s62, 0, s62
	s_mul_hi_u32 s65, s0, s56
	s_add_u32 s57, s61, s57
	s_mul_i32 s56, s0, s56
	s_addc_u32 s57, s62, s63
	s_addc_u32 s61, s65, 0
	s_add_u32 s56, s57, s56
	s_addc_u32 s57, 0, s61
	s_add_u32 s53, s53, s56
	s_cselect_b32 s56, -1, 0
	s_mul_hi_u32 s61, s54, s53
	s_cmp_lg_u32 s56, 0
	s_mul_i32 s56, s54, s53
	s_addc_u32 s0, s0, s57
	s_mul_i32 s55, s55, s53
	s_mul_i32 s54, s54, s0
	s_mul_hi_u32 s57, s53, s56
	s_add_i32 s54, s61, s54
	s_mul_hi_u32 s61, s0, s56
	s_add_i32 s54, s54, s55
	s_mul_i32 s55, s0, s56
	s_mul_i32 s63, s53, s54
	s_mul_hi_u32 s62, s53, s54
	s_add_u32 s57, s57, s63
	s_addc_u32 s62, 0, s62
	s_mul_hi_u32 s56, s0, s54
	s_add_u32 s55, s57, s55
	s_mul_i32 s54, s0, s54
	s_addc_u32 s55, s62, s61
	s_addc_u32 s56, s56, 0
	s_add_u32 s54, s55, s54
	s_addc_u32 s55, 0, s56
	s_add_u32 s53, s53, s54
	s_cselect_b32 s54, -1, 0
	v_mul_hi_u32 v21, v3, s53
	s_cmp_lg_u32 s54, 0
	v_mad_u64_u32 v[14:15], null, v20, s53, 0
	s_addc_u32 s0, s0, s55
	v_mad_u64_u32 v[12:13], null, v3, s0, 0
	v_mad_u64_u32 v[17:18], null, v20, s0, 0
	v_add_co_u32 v12, vcc_lo, v21, v12
	v_add_co_ci_u32_e64 v13, null, 0, v13, vcc_lo
	v_add_co_u32 v12, vcc_lo, v12, v14
	v_add_co_ci_u32_e32 v12, vcc_lo, v13, v15, vcc_lo
	v_add_co_ci_u32_e32 v13, vcc_lo, 0, v18, vcc_lo
	v_add_co_u32 v12, vcc_lo, v12, v17
	v_add_co_ci_u32_e64 v14, null, 0, v13, vcc_lo
	v_mul_lo_u32 v15, s3, v12
	v_mad_u64_u32 v[12:13], null, s2, v12, 0
	v_mul_lo_u32 v14, s2, v14
	v_sub_co_u32 v3, vcc_lo, v3, v12
	v_add3_u32 v13, v13, v14, v15
	v_cmp_le_u32_e64 s0, s2, v3
	v_sub_nc_u32_e32 v14, v20, v13
	v_sub_co_ci_u32_e64 v13, null, v20, v13, vcc_lo
	v_cndmask_b32_e64 v17, 0, -1, s0
	v_subrev_co_ci_u32_e64 v12, null, s3, v14, vcc_lo
	v_sub_co_u32 v14, vcc_lo, v3, s2
	v_subrev_co_ci_u32_e64 v15, null, 0, v12, vcc_lo
	v_cmp_le_u32_e64 s0, s2, v14
	v_subrev_co_ci_u32_e64 v12, null, s3, v12, vcc_lo
	v_cmp_le_u32_e32 vcc_lo, s3, v13
	v_cndmask_b32_e64 v18, 0, -1, s0
	v_cmp_le_u32_e64 s0, s3, v15
	v_cndmask_b32_e64 v21, 0, -1, vcc_lo
	v_cmp_eq_u32_e32 vcc_lo, s3, v15
	v_cndmask_b32_e64 v20, 0, -1, s0
	v_cmp_eq_u32_e64 s0, s3, v13
	v_cndmask_b32_e32 v18, v20, v18, vcc_lo
	v_sub_co_u32 v20, vcc_lo, v14, s2
	v_subrev_co_ci_u32_e64 v12, null, 0, v12, vcc_lo
	v_cmp_ne_u32_e32 vcc_lo, 0, v18
	v_cndmask_b32_e64 v17, v21, v17, s0
	v_cndmask_b32_e32 v12, v15, v12, vcc_lo
	v_cndmask_b32_e32 v14, v14, v20, vcc_lo
	v_cmp_ne_u32_e32 vcc_lo, 0, v17
	v_cndmask_b32_e32 v3, v3, v14, vcc_lo
	v_cndmask_b32_e32 v12, v13, v12, vcc_lo
	v_xor_b32_e32 v3, v3, v19
	v_xor_b32_e32 v13, v12, v19
	v_sub_co_u32 v12, vcc_lo, v3, v19
	v_sub_co_ci_u32_e64 v13, null, v13, v19, vcc_lo
.LBB1_14:                               ;   in Loop: Header=BB1_4 Depth=1
	s_andn2_saveexec_b32 s0, s1
	s_cbranch_execz .LBB1_16
; %bb.15:                               ;   in Loop: Header=BB1_4 Depth=1
	v_cvt_f32_u32_e32 v3, s16
	s_sub_i32 s1, 0, s16
	v_mov_b32_e32 v13, v2
	v_rcp_iflag_f32_e32 v3, v3
	v_mul_f32_e32 v3, 0x4f7ffffe, v3
	v_cvt_u32_f32_e32 v3, v3
	v_mul_lo_u32 v12, s1, v3
	v_mul_hi_u32 v12, v3, v12
	v_add_nc_u32_e32 v3, v3, v12
	v_mul_hi_u32 v3, v10, v3
	v_mul_lo_u32 v3, v3, s16
	v_sub_nc_u32_e32 v3, v10, v3
	v_subrev_nc_u32_e32 v12, s16, v3
	v_cmp_le_u32_e32 vcc_lo, s16, v3
	v_cndmask_b32_e32 v3, v3, v12, vcc_lo
	v_subrev_nc_u32_e32 v12, s16, v3
	v_cmp_le_u32_e32 vcc_lo, s16, v3
	v_cndmask_b32_e32 v12, v3, v12, vcc_lo
.LBB1_16:                               ;   in Loop: Header=BB1_4 Depth=1
	s_or_b32 exec_lo, exec_lo, s0
	v_or_b32_e32 v3, s59, v7
                                        ; implicit-def: $vgpr14_vgpr15
	s_mov_b32 s0, exec_lo
	v_cmpx_ne_u64_e32 0, v[2:3]
	s_xor_b32 s1, exec_lo, s0
	s_cbranch_execz .LBB1_18
; %bb.17:                               ;   in Loop: Header=BB1_4 Depth=1
	s_ashr_i32 s2, s59, 31
	v_add_co_u32 v15, vcc_lo, v6, v16
	s_add_u32 s54, s33, s2
	s_mov_b32 s3, s2
	s_addc_u32 s55, s59, s2
	v_add_co_ci_u32_e64 v17, null, v7, v16, vcc_lo
	s_xor_b64 s[54:55], s[54:55], s[2:3]
	v_cvt_f32_u32_e32 v3, s54
	v_cvt_f32_u32_e32 v14, s55
	s_sub_u32 s53, 0, s54
	s_subb_u32 s56, 0, s55
	v_xor_b32_e32 v21, v17, v16
	v_fmac_f32_e32 v3, 0x4f800000, v14
	v_rcp_f32_e32 v3, v3
	v_mul_f32_e32 v3, 0x5f7ffffc, v3
	v_mul_f32_e32 v14, 0x2f800000, v3
	v_trunc_f32_e32 v14, v14
	v_fmac_f32_e32 v3, 0xcf800000, v14
	v_cvt_u32_f32_e32 v14, v14
	v_cvt_u32_f32_e32 v3, v3
	v_readfirstlane_b32 s0, v14
	v_readfirstlane_b32 s3, v3
	s_mul_i32 s57, s53, s0
	v_xor_b32_e32 v3, v15, v16
	s_mul_hi_u32 s62, s53, s3
	s_mul_i32 s61, s56, s3
	s_add_i32 s57, s62, s57
	s_mul_i32 s63, s53, s3
	s_add_i32 s57, s57, s61
	s_mul_hi_u32 s62, s3, s63
	s_mul_i32 s65, s3, s57
	s_mul_hi_u32 s64, s0, s63
	s_mul_i32 s61, s0, s63
	s_mul_hi_u32 s63, s3, s57
	s_add_u32 s62, s62, s65
	s_addc_u32 s63, 0, s63
	s_mul_hi_u32 s66, s0, s57
	s_add_u32 s61, s62, s61
	s_mul_i32 s57, s0, s57
	s_addc_u32 s61, s63, s64
	s_addc_u32 s62, s66, 0
	s_add_u32 s57, s61, s57
	s_addc_u32 s61, 0, s62
	s_add_u32 s3, s3, s57
	s_cselect_b32 s57, -1, 0
	s_mul_hi_u32 s62, s53, s3
	s_cmp_lg_u32 s57, 0
	s_mul_i32 s57, s53, s3
	s_addc_u32 s0, s0, s61
	s_mul_i32 s56, s56, s3
	s_mul_i32 s53, s53, s0
	s_mul_hi_u32 s61, s3, s57
	s_add_i32 s53, s62, s53
	s_mul_hi_u32 s62, s0, s57
	s_add_i32 s53, s53, s56
	s_mul_i32 s56, s0, s57
	s_mul_i32 s64, s3, s53
	s_mul_hi_u32 s63, s3, s53
	s_add_u32 s61, s61, s64
	s_addc_u32 s63, 0, s63
	s_mul_hi_u32 s57, s0, s53
	s_add_u32 s56, s61, s56
	s_mul_i32 s53, s0, s53
	s_addc_u32 s56, s63, s62
	s_addc_u32 s57, s57, 0
	s_add_u32 s53, s56, s53
	s_addc_u32 s56, 0, s57
	s_add_u32 s3, s3, s53
	s_cselect_b32 s53, -1, 0
	v_mul_hi_u32 v22, v3, s3
	s_cmp_lg_u32 s53, 0
	v_mad_u64_u32 v[17:18], null, v21, s3, 0
	s_addc_u32 s0, s0, s56
	v_mad_u64_u32 v[14:15], null, v3, s0, 0
	v_mad_u64_u32 v[19:20], null, v21, s0, 0
	v_add_co_u32 v14, vcc_lo, v22, v14
	v_add_co_ci_u32_e64 v15, null, 0, v15, vcc_lo
	v_add_co_u32 v14, vcc_lo, v14, v17
	v_add_co_ci_u32_e32 v14, vcc_lo, v15, v18, vcc_lo
	v_add_co_ci_u32_e32 v15, vcc_lo, 0, v20, vcc_lo
	v_add_co_u32 v17, vcc_lo, v14, v19
	v_add_co_ci_u32_e64 v18, null, 0, v15, vcc_lo
	v_mul_lo_u32 v19, s55, v17
	v_mad_u64_u32 v[14:15], null, s54, v17, 0
	v_mul_lo_u32 v20, s54, v18
	v_sub_co_u32 v3, vcc_lo, v3, v14
	v_add3_u32 v15, v15, v20, v19
	v_sub_nc_u32_e32 v19, v21, v15
	v_sub_co_ci_u32_e64 v15, null, v21, v15, vcc_lo
	v_subrev_co_ci_u32_e64 v14, null, s55, v19, vcc_lo
	v_add_co_u32 v19, s0, v17, 2
	v_add_co_ci_u32_e64 v20, null, 0, v18, s0
	v_sub_co_u32 v22, s0, v3, s54
	v_subrev_co_ci_u32_e64 v14, null, 0, v14, s0
	v_cmp_le_u32_e32 vcc_lo, s54, v22
	v_cndmask_b32_e64 v21, 0, -1, vcc_lo
	v_cmp_le_u32_e32 vcc_lo, s55, v14
	v_cndmask_b32_e64 v22, 0, -1, vcc_lo
	;; [unrolled: 2-line block ×4, first 2 shown]
	v_cmp_eq_u32_e32 vcc_lo, s55, v14
	v_cndmask_b32_e32 v14, v22, v21, vcc_lo
	v_add_co_u32 v21, vcc_lo, v17, 1
	v_add_co_ci_u32_e64 v22, null, 0, v18, vcc_lo
	v_cmp_eq_u32_e32 vcc_lo, s55, v15
	v_xor_b32_e32 v15, s2, v16
	v_cndmask_b32_e32 v3, v23, v3, vcc_lo
	v_cmp_ne_u32_e32 vcc_lo, 0, v14
	v_cmp_ne_u32_e64 s0, 0, v3
	v_cndmask_b32_e32 v3, v21, v19, vcc_lo
	v_cndmask_b32_e32 v14, v22, v20, vcc_lo
	v_cndmask_b32_e64 v3, v17, v3, s0
	v_cndmask_b32_e64 v14, v18, v14, s0
	v_xor_b32_e32 v3, v3, v15
	v_xor_b32_e32 v16, v14, v15
	v_sub_co_u32 v14, vcc_lo, v3, v15
	v_sub_co_ci_u32_e64 v15, null, v16, v15, vcc_lo
.LBB1_18:                               ;   in Loop: Header=BB1_4 Depth=1
	s_andn2_saveexec_b32 s0, s1
	s_cbranch_execz .LBB1_20
; %bb.19:                               ;   in Loop: Header=BB1_4 Depth=1
	v_cvt_f32_u32_e32 v3, s33
	s_sub_i32 s1, 0, s33
	v_rcp_iflag_f32_e32 v3, v3
	v_mul_f32_e32 v3, 0x4f7ffffe, v3
	v_cvt_u32_f32_e32 v3, v3
	v_mul_lo_u32 v14, s1, v3
	v_mul_hi_u32 v14, v3, v14
	v_add_nc_u32_e32 v3, v3, v14
	v_mul_hi_u32 v3, v6, v3
	v_mul_lo_u32 v14, v3, s33
	v_add_nc_u32_e32 v15, 1, v3
	v_sub_nc_u32_e32 v14, v6, v14
	v_subrev_nc_u32_e32 v16, s33, v14
	v_cmp_le_u32_e32 vcc_lo, s33, v14
	v_cndmask_b32_e32 v14, v14, v16, vcc_lo
	v_cndmask_b32_e32 v3, v3, v15, vcc_lo
	v_cmp_le_u32_e32 vcc_lo, s33, v14
	v_add_nc_u32_e32 v15, 1, v3
	v_cndmask_b32_e32 v14, v3, v15, vcc_lo
	v_mov_b32_e32 v15, v2
.LBB1_20:                               ;   in Loop: Header=BB1_4 Depth=1
	s_or_b32 exec_lo, exec_lo, s0
	v_mul_lo_u32 v3, v11, s18
	v_mul_lo_u32 v11, v10, s19
	v_mad_u64_u32 v[16:17], null, v10, s18, 0
	s_mov_b32 s1, exec_lo
	v_add3_u32 v17, v17, v11, v3
	v_sub_co_u32 v3, vcc_lo, v6, v16
	v_sub_co_ci_u32_e64 v10, null, v7, v17, vcc_lo
	v_add_co_u32 v18, vcc_lo, v3, s38
	v_add_co_ci_u32_e64 v19, null, s39, v10, vcc_lo
	v_mov_b32_e32 v10, 0
	v_mov_b32_e32 v11, 0
	v_cmpx_lt_i64_e64 s[24:25], v[18:19]
	s_cbranch_execz .LBB1_26
; %bb.21:                               ;   in Loop: Header=BB1_4 Depth=1
	v_add_co_u32 v20, vcc_lo, v18, s26
	v_add_co_ci_u32_e64 v21, null, s27, v19, vcc_lo
                                        ; implicit-def: $vgpr10_vgpr11
	s_mov_b32 s0, exec_lo
	v_or_b32_e32 v3, s43, v21
	v_cmpx_ne_u64_e32 0, v[2:3]
	s_xor_b32 s53, exec_lo, s0
	s_cbranch_execz .LBB1_23
; %bb.22:                               ;   in Loop: Header=BB1_4 Depth=1
	s_ashr_i32 s2, s43, 31
	v_ashrrev_i32_e32 v24, 31, v21
	s_add_u32 s54, s42, s2
	s_mov_b32 s3, s2
	s_addc_u32 s55, s43, s2
	s_xor_b64 s[54:55], s[54:55], s[2:3]
	v_add_co_u32 v11, vcc_lo, v20, v24
	v_cvt_f32_u32_e32 v3, s54
	v_cvt_f32_u32_e32 v10, s55
	s_sub_u32 s56, 0, s54
	s_subb_u32 s57, 0, s55
	v_add_co_ci_u32_e64 v20, null, v21, v24, vcc_lo
	v_fmac_f32_e32 v3, 0x4f800000, v10
	v_xor_b32_e32 v25, v20, v24
	v_rcp_f32_e32 v3, v3
	v_mul_f32_e32 v3, 0x5f7ffffc, v3
	v_mul_f32_e32 v10, 0x2f800000, v3
	v_trunc_f32_e32 v10, v10
	v_fmac_f32_e32 v3, 0xcf800000, v10
	v_cvt_u32_f32_e32 v10, v10
	v_cvt_u32_f32_e32 v3, v3
	v_readfirstlane_b32 s0, v10
	v_readfirstlane_b32 s3, v3
	s_mul_i32 s61, s56, s0
	v_xor_b32_e32 v3, v11, v24
	s_mul_hi_u32 s63, s56, s3
	s_mul_i32 s62, s57, s3
	s_add_i32 s61, s63, s61
	s_mul_i32 s64, s56, s3
	s_add_i32 s61, s61, s62
	s_mul_hi_u32 s63, s3, s64
	s_mul_i32 s66, s3, s61
	s_mul_hi_u32 s65, s0, s64
	s_mul_i32 s62, s0, s64
	s_mul_hi_u32 s64, s3, s61
	s_add_u32 s63, s63, s66
	s_addc_u32 s64, 0, s64
	s_mul_hi_u32 s67, s0, s61
	s_add_u32 s62, s63, s62
	s_mul_i32 s61, s0, s61
	s_addc_u32 s62, s64, s65
	s_addc_u32 s63, s67, 0
	s_add_u32 s61, s62, s61
	s_addc_u32 s62, 0, s63
	s_add_u32 s3, s3, s61
	s_cselect_b32 s61, -1, 0
	s_mul_hi_u32 s63, s56, s3
	s_cmp_lg_u32 s61, 0
	s_mul_i32 s61, s56, s3
	s_addc_u32 s0, s0, s62
	s_mul_i32 s57, s57, s3
	s_mul_i32 s56, s56, s0
	s_mul_hi_u32 s62, s3, s61
	s_add_i32 s56, s63, s56
	s_mul_hi_u32 s63, s0, s61
	s_add_i32 s56, s56, s57
	s_mul_i32 s57, s0, s61
	s_mul_i32 s65, s3, s56
	s_mul_hi_u32 s64, s3, s56
	s_add_u32 s62, s62, s65
	s_addc_u32 s64, 0, s64
	s_mul_hi_u32 s61, s0, s56
	s_add_u32 s57, s62, s57
	s_mul_i32 s56, s0, s56
	s_addc_u32 s57, s64, s63
	s_addc_u32 s61, s61, 0
	s_add_u32 s56, s57, s56
	s_addc_u32 s57, 0, s61
	s_add_u32 s3, s3, s56
	s_cselect_b32 s56, -1, 0
	v_mul_hi_u32 v26, v3, s3
	s_cmp_lg_u32 s56, 0
	v_mad_u64_u32 v[20:21], null, v25, s3, 0
	s_addc_u32 s0, s0, s57
	v_mad_u64_u32 v[10:11], null, v3, s0, 0
	v_mad_u64_u32 v[22:23], null, v25, s0, 0
	v_add_co_u32 v10, vcc_lo, v26, v10
	v_add_co_ci_u32_e64 v11, null, 0, v11, vcc_lo
	v_add_co_u32 v10, vcc_lo, v10, v20
	v_add_co_ci_u32_e32 v10, vcc_lo, v11, v21, vcc_lo
	v_add_co_ci_u32_e32 v11, vcc_lo, 0, v23, vcc_lo
	v_add_co_u32 v20, vcc_lo, v10, v22
	v_add_co_ci_u32_e64 v21, null, 0, v11, vcc_lo
	v_mul_lo_u32 v22, s55, v20
	v_mad_u64_u32 v[10:11], null, s54, v20, 0
	v_mul_lo_u32 v23, s54, v21
	v_sub_co_u32 v3, vcc_lo, v3, v10
	v_add3_u32 v11, v11, v23, v22
	v_sub_nc_u32_e32 v22, v25, v11
	v_sub_co_ci_u32_e64 v11, null, v25, v11, vcc_lo
	v_subrev_co_ci_u32_e64 v10, null, s55, v22, vcc_lo
	v_add_co_u32 v22, s0, v20, 2
	v_add_co_ci_u32_e64 v23, null, 0, v21, s0
	v_sub_co_u32 v26, s0, v3, s54
	v_subrev_co_ci_u32_e64 v10, null, 0, v10, s0
	v_cmp_le_u32_e32 vcc_lo, s54, v26
	v_cndmask_b32_e64 v25, 0, -1, vcc_lo
	v_cmp_le_u32_e32 vcc_lo, s55, v10
	v_cndmask_b32_e64 v26, 0, -1, vcc_lo
	;; [unrolled: 2-line block ×4, first 2 shown]
	v_cmp_eq_u32_e32 vcc_lo, s55, v10
	v_cndmask_b32_e32 v10, v26, v25, vcc_lo
	v_add_co_u32 v25, vcc_lo, v20, 1
	v_add_co_ci_u32_e64 v26, null, 0, v21, vcc_lo
	v_cmp_eq_u32_e32 vcc_lo, s55, v11
	v_xor_b32_e32 v11, s2, v24
	v_cndmask_b32_e32 v3, v27, v3, vcc_lo
	v_cmp_ne_u32_e32 vcc_lo, 0, v10
	v_cmp_ne_u32_e64 s0, 0, v3
	v_cndmask_b32_e32 v3, v25, v22, vcc_lo
	v_cndmask_b32_e32 v10, v26, v23, vcc_lo
	v_cndmask_b32_e64 v3, v20, v3, s0
	v_cndmask_b32_e64 v10, v21, v10, s0
	v_xor_b32_e32 v3, v3, v11
	v_xor_b32_e32 v20, v10, v11
	v_sub_co_u32 v10, vcc_lo, v3, v11
	v_sub_co_ci_u32_e64 v11, null, v20, v11, vcc_lo
                                        ; implicit-def: $vgpr20
.LBB1_23:                               ;   in Loop: Header=BB1_4 Depth=1
	s_andn2_saveexec_b32 s0, s53
	s_cbranch_execz .LBB1_25
; %bb.24:                               ;   in Loop: Header=BB1_4 Depth=1
	v_cvt_f32_u32_e32 v3, s42
	s_sub_i32 s2, 0, s42
	v_rcp_iflag_f32_e32 v3, v3
	v_mul_f32_e32 v3, 0x4f7ffffe, v3
	v_cvt_u32_f32_e32 v3, v3
	v_mul_lo_u32 v10, s2, v3
	v_mul_hi_u32 v10, v3, v10
	v_add_nc_u32_e32 v3, v3, v10
	v_mul_hi_u32 v3, v20, v3
	v_mul_lo_u32 v10, v3, s42
	v_add_nc_u32_e32 v11, 1, v3
	v_sub_nc_u32_e32 v10, v20, v10
	v_subrev_nc_u32_e32 v20, s42, v10
	v_cmp_le_u32_e32 vcc_lo, s42, v10
	v_cndmask_b32_e32 v10, v10, v20, vcc_lo
	v_cndmask_b32_e32 v3, v3, v11, vcc_lo
	v_cmp_le_u32_e32 vcc_lo, s42, v10
	v_add_nc_u32_e32 v11, 1, v3
	v_cndmask_b32_e32 v10, v3, v11, vcc_lo
	v_mov_b32_e32 v11, v2
.LBB1_25:                               ;   in Loop: Header=BB1_4 Depth=1
	s_or_b32 exec_lo, exec_lo, s0
	v_add_co_u32 v10, vcc_lo, v10, 1
	v_add_co_ci_u32_e64 v11, null, 0, v11, vcc_lo
.LBB1_26:                               ;   in Loop: Header=BB1_4 Depth=1
	s_or_b32 exec_lo, exec_lo, s1
	v_or_b32_e32 v3, s43, v19
                                        ; implicit-def: $vgpr22_vgpr23
	s_mov_b32 s0, exec_lo
	v_cmpx_ne_u64_e32 0, v[2:3]
	s_xor_b32 s1, exec_lo, s0
	s_cbranch_execz .LBB1_28
; %bb.27:                               ;   in Loop: Header=BB1_4 Depth=1
	s_ashr_i32 s2, s43, 31
	v_ashrrev_i32_e32 v24, 31, v19
	s_add_u32 s54, s42, s2
	s_mov_b32 s3, s2
	s_addc_u32 s55, s43, s2
	s_xor_b64 s[54:55], s[54:55], s[2:3]
	v_add_co_u32 v18, vcc_lo, v18, v24
	v_cvt_f32_u32_e32 v3, s54
	v_cvt_f32_u32_e32 v20, s55
	s_sub_u32 s53, 0, s54
	s_subb_u32 s56, 0, s55
	v_add_co_ci_u32_e64 v19, null, v19, v24, vcc_lo
	v_fmac_f32_e32 v3, 0x4f800000, v20
	v_xor_b32_e32 v25, v19, v24
	v_rcp_f32_e32 v3, v3
	v_mul_f32_e32 v3, 0x5f7ffffc, v3
	v_mul_f32_e32 v20, 0x2f800000, v3
	v_trunc_f32_e32 v20, v20
	v_fmac_f32_e32 v3, 0xcf800000, v20
	v_cvt_u32_f32_e32 v20, v20
	v_cvt_u32_f32_e32 v3, v3
	v_readfirstlane_b32 s0, v20
	v_readfirstlane_b32 s3, v3
	s_mul_i32 s57, s53, s0
	v_xor_b32_e32 v3, v18, v24
	s_mul_hi_u32 s62, s53, s3
	s_mul_i32 s61, s56, s3
	s_add_i32 s57, s62, s57
	s_mul_i32 s63, s53, s3
	s_add_i32 s57, s57, s61
	s_mul_hi_u32 s62, s3, s63
	s_mul_i32 s65, s3, s57
	s_mul_hi_u32 s64, s0, s63
	s_mul_i32 s61, s0, s63
	s_mul_hi_u32 s63, s3, s57
	s_add_u32 s62, s62, s65
	s_addc_u32 s63, 0, s63
	s_mul_hi_u32 s66, s0, s57
	s_add_u32 s61, s62, s61
	s_mul_i32 s57, s0, s57
	s_addc_u32 s61, s63, s64
	s_addc_u32 s62, s66, 0
	s_add_u32 s57, s61, s57
	s_addc_u32 s61, 0, s62
	s_add_u32 s3, s3, s57
	s_cselect_b32 s57, -1, 0
	s_mul_hi_u32 s62, s53, s3
	s_cmp_lg_u32 s57, 0
	s_mul_i32 s57, s53, s3
	s_addc_u32 s0, s0, s61
	s_mul_i32 s56, s56, s3
	s_mul_i32 s53, s53, s0
	s_mul_hi_u32 s61, s3, s57
	s_add_i32 s53, s62, s53
	s_mul_hi_u32 s62, s0, s57
	s_add_i32 s53, s53, s56
	s_mul_i32 s56, s0, s57
	s_mul_i32 s64, s3, s53
	s_mul_hi_u32 s63, s3, s53
	s_add_u32 s61, s61, s64
	s_addc_u32 s63, 0, s63
	s_mul_hi_u32 s57, s0, s53
	s_add_u32 s56, s61, s56
	s_mul_i32 s53, s0, s53
	s_addc_u32 s56, s63, s62
	s_addc_u32 s57, s57, 0
	s_add_u32 s53, s56, s53
	s_addc_u32 s56, 0, s57
	s_add_u32 s3, s3, s53
	s_cselect_b32 s53, -1, 0
	v_mul_hi_u32 v26, v3, s3
	s_cmp_lg_u32 s53, 0
	v_mad_u64_u32 v[20:21], null, v25, s3, 0
	s_addc_u32 s0, s0, s56
	v_mad_u64_u32 v[18:19], null, v3, s0, 0
	v_mad_u64_u32 v[22:23], null, v25, s0, 0
	v_add_co_u32 v18, vcc_lo, v26, v18
	v_add_co_ci_u32_e64 v19, null, 0, v19, vcc_lo
	v_add_co_u32 v18, vcc_lo, v18, v20
	v_add_co_ci_u32_e32 v18, vcc_lo, v19, v21, vcc_lo
	v_add_co_ci_u32_e32 v19, vcc_lo, 0, v23, vcc_lo
	v_add_co_u32 v20, vcc_lo, v18, v22
	v_add_co_ci_u32_e64 v21, null, 0, v19, vcc_lo
	v_mul_lo_u32 v22, s55, v20
	v_mad_u64_u32 v[18:19], null, s54, v20, 0
	v_mul_lo_u32 v23, s54, v21
	v_sub_co_u32 v3, vcc_lo, v3, v18
	v_add3_u32 v19, v19, v23, v22
	v_sub_nc_u32_e32 v22, v25, v19
	v_sub_co_ci_u32_e64 v19, null, v25, v19, vcc_lo
	v_subrev_co_ci_u32_e64 v18, null, s55, v22, vcc_lo
	v_add_co_u32 v22, s0, v20, 2
	v_add_co_ci_u32_e64 v23, null, 0, v21, s0
	v_sub_co_u32 v26, s0, v3, s54
	v_subrev_co_ci_u32_e64 v18, null, 0, v18, s0
	v_cmp_le_u32_e32 vcc_lo, s54, v26
	v_cndmask_b32_e64 v25, 0, -1, vcc_lo
	v_cmp_le_u32_e32 vcc_lo, s55, v18
	v_cndmask_b32_e64 v26, 0, -1, vcc_lo
	;; [unrolled: 2-line block ×4, first 2 shown]
	v_cmp_eq_u32_e32 vcc_lo, s55, v18
	v_cndmask_b32_e32 v18, v26, v25, vcc_lo
	v_add_co_u32 v25, vcc_lo, v20, 1
	v_add_co_ci_u32_e64 v26, null, 0, v21, vcc_lo
	v_cmp_eq_u32_e32 vcc_lo, s55, v19
	v_xor_b32_e32 v19, s2, v24
	v_cndmask_b32_e32 v3, v27, v3, vcc_lo
	v_cmp_ne_u32_e32 vcc_lo, 0, v18
	v_cmp_ne_u32_e64 s0, 0, v3
	v_cndmask_b32_e32 v3, v25, v22, vcc_lo
	v_cndmask_b32_e32 v18, v26, v23, vcc_lo
	v_cndmask_b32_e64 v3, v20, v3, s0
	v_cndmask_b32_e64 v18, v21, v18, s0
	v_xor_b32_e32 v3, v3, v19
	v_xor_b32_e32 v18, v18, v19
	v_sub_co_u32 v22, vcc_lo, v3, v19
	v_sub_co_ci_u32_e64 v23, null, v18, v19, vcc_lo
                                        ; implicit-def: $vgpr18
.LBB1_28:                               ;   in Loop: Header=BB1_4 Depth=1
	s_andn2_saveexec_b32 s0, s1
	s_cbranch_execz .LBB1_30
; %bb.29:                               ;   in Loop: Header=BB1_4 Depth=1
	v_cvt_f32_u32_e32 v3, s42
	s_sub_i32 s1, 0, s42
	v_mov_b32_e32 v23, v2
	v_rcp_iflag_f32_e32 v3, v3
	v_mul_f32_e32 v3, 0x4f7ffffe, v3
	v_cvt_u32_f32_e32 v3, v3
	v_mul_lo_u32 v19, s1, v3
	v_mul_hi_u32 v19, v3, v19
	v_add_nc_u32_e32 v3, v3, v19
	v_mul_hi_u32 v3, v18, v3
	v_mul_lo_u32 v19, v3, s42
	v_sub_nc_u32_e32 v18, v18, v19
	v_add_nc_u32_e32 v19, 1, v3
	v_subrev_nc_u32_e32 v20, s42, v18
	v_cmp_le_u32_e32 vcc_lo, s42, v18
	v_cndmask_b32_e32 v18, v18, v20, vcc_lo
	v_cndmask_b32_e32 v3, v3, v19, vcc_lo
	v_cmp_le_u32_e32 vcc_lo, s42, v18
	v_add_nc_u32_e32 v19, 1, v3
	v_cndmask_b32_e32 v22, v3, v19, vcc_lo
.LBB1_30:                               ;   in Loop: Header=BB1_4 Depth=1
	s_or_b32 exec_lo, exec_lo, s0
	v_add_co_u32 v12, vcc_lo, v12, s36
	v_mov_b32_e32 v18, 0
	v_add_co_ci_u32_e64 v13, null, s37, v13, vcc_lo
	v_mov_b32_e32 v19, 0
	s_mov_b32 s1, exec_lo
	v_cmpx_lt_i64_e64 s[30:31], v[12:13]
	s_cbranch_execz .LBB1_36
; %bb.31:                               ;   in Loop: Header=BB1_4 Depth=1
	v_add_co_u32 v20, vcc_lo, v12, s34
	v_add_co_ci_u32_e64 v21, null, s35, v13, vcc_lo
                                        ; implicit-def: $vgpr18_vgpr19
	s_mov_b32 s0, exec_lo
	v_or_b32_e32 v3, s41, v21
	v_cmpx_ne_u64_e32 0, v[2:3]
	s_xor_b32 s53, exec_lo, s0
	s_cbranch_execz .LBB1_33
; %bb.32:                               ;   in Loop: Header=BB1_4 Depth=1
	s_ashr_i32 s2, s41, 31
	v_ashrrev_i32_e32 v26, 31, v21
	s_add_u32 s54, s40, s2
	s_mov_b32 s3, s2
	s_addc_u32 s55, s41, s2
	s_xor_b64 s[54:55], s[54:55], s[2:3]
	v_add_co_u32 v19, vcc_lo, v20, v26
	v_cvt_f32_u32_e32 v3, s54
	v_cvt_f32_u32_e32 v18, s55
	s_sub_u32 s56, 0, s54
	s_subb_u32 s57, 0, s55
	v_add_co_ci_u32_e64 v20, null, v21, v26, vcc_lo
	v_fmac_f32_e32 v3, 0x4f800000, v18
	v_xor_b32_e32 v27, v20, v26
	v_rcp_f32_e32 v3, v3
	v_mul_f32_e32 v3, 0x5f7ffffc, v3
	v_mul_f32_e32 v18, 0x2f800000, v3
	v_trunc_f32_e32 v18, v18
	v_fmac_f32_e32 v3, 0xcf800000, v18
	v_cvt_u32_f32_e32 v18, v18
	v_cvt_u32_f32_e32 v3, v3
	v_readfirstlane_b32 s0, v18
	v_readfirstlane_b32 s3, v3
	s_mul_i32 s61, s56, s0
	v_xor_b32_e32 v3, v19, v26
	s_mul_hi_u32 s63, s56, s3
	s_mul_i32 s62, s57, s3
	s_add_i32 s61, s63, s61
	s_mul_i32 s64, s56, s3
	s_add_i32 s61, s61, s62
	s_mul_hi_u32 s63, s3, s64
	s_mul_i32 s66, s3, s61
	s_mul_hi_u32 s65, s0, s64
	s_mul_i32 s62, s0, s64
	s_mul_hi_u32 s64, s3, s61
	s_add_u32 s63, s63, s66
	s_addc_u32 s64, 0, s64
	s_mul_hi_u32 s67, s0, s61
	s_add_u32 s62, s63, s62
	s_mul_i32 s61, s0, s61
	s_addc_u32 s62, s64, s65
	s_addc_u32 s63, s67, 0
	s_add_u32 s61, s62, s61
	s_addc_u32 s62, 0, s63
	s_add_u32 s3, s3, s61
	s_cselect_b32 s61, -1, 0
	s_mul_hi_u32 s63, s56, s3
	s_cmp_lg_u32 s61, 0
	s_mul_i32 s61, s56, s3
	s_addc_u32 s0, s0, s62
	s_mul_i32 s57, s57, s3
	s_mul_i32 s56, s56, s0
	s_mul_hi_u32 s62, s3, s61
	s_add_i32 s56, s63, s56
	s_mul_hi_u32 s63, s0, s61
	s_add_i32 s56, s56, s57
	s_mul_i32 s57, s0, s61
	s_mul_i32 s65, s3, s56
	s_mul_hi_u32 s64, s3, s56
	s_add_u32 s62, s62, s65
	s_addc_u32 s64, 0, s64
	s_mul_hi_u32 s61, s0, s56
	s_add_u32 s57, s62, s57
	s_mul_i32 s56, s0, s56
	s_addc_u32 s57, s64, s63
	s_addc_u32 s61, s61, 0
	s_add_u32 s56, s57, s56
	s_addc_u32 s57, 0, s61
	s_add_u32 s3, s3, s56
	s_cselect_b32 s56, -1, 0
	v_mul_hi_u32 v28, v3, s3
	s_cmp_lg_u32 s56, 0
	v_mad_u64_u32 v[20:21], null, v27, s3, 0
	s_addc_u32 s0, s0, s57
	v_mad_u64_u32 v[18:19], null, v3, s0, 0
	v_mad_u64_u32 v[24:25], null, v27, s0, 0
	v_add_co_u32 v18, vcc_lo, v28, v18
	v_add_co_ci_u32_e64 v19, null, 0, v19, vcc_lo
	v_add_co_u32 v18, vcc_lo, v18, v20
	v_add_co_ci_u32_e32 v18, vcc_lo, v19, v21, vcc_lo
	v_add_co_ci_u32_e32 v19, vcc_lo, 0, v25, vcc_lo
	v_add_co_u32 v20, vcc_lo, v18, v24
	v_add_co_ci_u32_e64 v21, null, 0, v19, vcc_lo
	v_mul_lo_u32 v24, s55, v20
	v_mad_u64_u32 v[18:19], null, s54, v20, 0
	v_mul_lo_u32 v25, s54, v21
	v_sub_co_u32 v3, vcc_lo, v3, v18
	v_add3_u32 v19, v19, v25, v24
	v_sub_nc_u32_e32 v24, v27, v19
	v_sub_co_ci_u32_e64 v19, null, v27, v19, vcc_lo
	v_subrev_co_ci_u32_e64 v18, null, s55, v24, vcc_lo
	v_add_co_u32 v24, s0, v20, 2
	v_add_co_ci_u32_e64 v25, null, 0, v21, s0
	v_sub_co_u32 v28, s0, v3, s54
	v_subrev_co_ci_u32_e64 v18, null, 0, v18, s0
	v_cmp_le_u32_e32 vcc_lo, s54, v28
	v_cndmask_b32_e64 v27, 0, -1, vcc_lo
	v_cmp_le_u32_e32 vcc_lo, s55, v18
	v_cndmask_b32_e64 v28, 0, -1, vcc_lo
	v_cmp_le_u32_e32 vcc_lo, s54, v3
	v_cndmask_b32_e64 v3, 0, -1, vcc_lo
	v_cmp_le_u32_e32 vcc_lo, s55, v19
	v_cndmask_b32_e64 v29, 0, -1, vcc_lo
	v_cmp_eq_u32_e32 vcc_lo, s55, v18
	v_cndmask_b32_e32 v18, v28, v27, vcc_lo
	v_add_co_u32 v27, vcc_lo, v20, 1
	v_add_co_ci_u32_e64 v28, null, 0, v21, vcc_lo
	v_cmp_eq_u32_e32 vcc_lo, s55, v19
	v_xor_b32_e32 v19, s2, v26
	v_cndmask_b32_e32 v3, v29, v3, vcc_lo
	v_cmp_ne_u32_e32 vcc_lo, 0, v18
	v_cmp_ne_u32_e64 s0, 0, v3
	v_cndmask_b32_e32 v3, v27, v24, vcc_lo
	v_cndmask_b32_e32 v18, v28, v25, vcc_lo
	v_cndmask_b32_e64 v3, v20, v3, s0
	v_cndmask_b32_e64 v18, v21, v18, s0
	v_xor_b32_e32 v3, v3, v19
	v_xor_b32_e32 v20, v18, v19
	v_sub_co_u32 v18, vcc_lo, v3, v19
	v_sub_co_ci_u32_e64 v19, null, v20, v19, vcc_lo
                                        ; implicit-def: $vgpr20
.LBB1_33:                               ;   in Loop: Header=BB1_4 Depth=1
	s_andn2_saveexec_b32 s0, s53
	s_cbranch_execz .LBB1_35
; %bb.34:                               ;   in Loop: Header=BB1_4 Depth=1
	v_cvt_f32_u32_e32 v3, s40
	s_sub_i32 s2, 0, s40
	v_rcp_iflag_f32_e32 v3, v3
	v_mul_f32_e32 v3, 0x4f7ffffe, v3
	v_cvt_u32_f32_e32 v3, v3
	v_mul_lo_u32 v18, s2, v3
	v_mul_hi_u32 v18, v3, v18
	v_add_nc_u32_e32 v3, v3, v18
	v_mul_hi_u32 v3, v20, v3
	v_mul_lo_u32 v18, v3, s40
	v_add_nc_u32_e32 v19, 1, v3
	v_sub_nc_u32_e32 v18, v20, v18
	v_subrev_nc_u32_e32 v20, s40, v18
	v_cmp_le_u32_e32 vcc_lo, s40, v18
	v_cndmask_b32_e32 v18, v18, v20, vcc_lo
	v_cndmask_b32_e32 v3, v3, v19, vcc_lo
	v_cmp_le_u32_e32 vcc_lo, s40, v18
	v_add_nc_u32_e32 v19, 1, v3
	v_cndmask_b32_e32 v18, v3, v19, vcc_lo
	v_mov_b32_e32 v19, v2
.LBB1_35:                               ;   in Loop: Header=BB1_4 Depth=1
	s_or_b32 exec_lo, exec_lo, s0
	v_add_co_u32 v18, vcc_lo, v18, 1
	v_add_co_ci_u32_e64 v19, null, 0, v19, vcc_lo
.LBB1_36:                               ;   in Loop: Header=BB1_4 Depth=1
	s_or_b32 exec_lo, exec_lo, s1
	v_or_b32_e32 v3, s41, v13
                                        ; implicit-def: $vgpr20_vgpr21
	s_mov_b32 s0, exec_lo
	v_cmpx_ne_u64_e32 0, v[2:3]
	s_xor_b32 s1, exec_lo, s0
	s_cbranch_execz .LBB1_38
; %bb.37:                               ;   in Loop: Header=BB1_4 Depth=1
	s_ashr_i32 s2, s41, 31
	v_ashrrev_i32_e32 v28, 31, v13
	s_add_u32 s54, s40, s2
	s_mov_b32 s3, s2
	s_addc_u32 s55, s41, s2
	s_xor_b64 s[54:55], s[54:55], s[2:3]
	v_add_co_u32 v21, vcc_lo, v12, v28
	v_cvt_f32_u32_e32 v3, s54
	v_cvt_f32_u32_e32 v20, s55
	s_sub_u32 s53, 0, s54
	s_subb_u32 s56, 0, s55
	v_add_co_ci_u32_e64 v24, null, v13, v28, vcc_lo
	v_fmac_f32_e32 v3, 0x4f800000, v20
	v_xor_b32_e32 v29, v24, v28
	v_rcp_f32_e32 v3, v3
	v_mul_f32_e32 v3, 0x5f7ffffc, v3
	v_mul_f32_e32 v20, 0x2f800000, v3
	v_trunc_f32_e32 v20, v20
	v_fmac_f32_e32 v3, 0xcf800000, v20
	v_cvt_u32_f32_e32 v20, v20
	v_cvt_u32_f32_e32 v3, v3
	v_readfirstlane_b32 s0, v20
	v_readfirstlane_b32 s3, v3
	s_mul_i32 s57, s53, s0
	v_xor_b32_e32 v3, v21, v28
	s_mul_hi_u32 s62, s53, s3
	s_mul_i32 s61, s56, s3
	s_add_i32 s57, s62, s57
	s_mul_i32 s63, s53, s3
	s_add_i32 s57, s57, s61
	s_mul_hi_u32 s62, s3, s63
	s_mul_i32 s65, s3, s57
	s_mul_hi_u32 s64, s0, s63
	s_mul_i32 s61, s0, s63
	s_mul_hi_u32 s63, s3, s57
	s_add_u32 s62, s62, s65
	s_addc_u32 s63, 0, s63
	s_mul_hi_u32 s66, s0, s57
	s_add_u32 s61, s62, s61
	s_mul_i32 s57, s0, s57
	s_addc_u32 s61, s63, s64
	s_addc_u32 s62, s66, 0
	s_add_u32 s57, s61, s57
	s_addc_u32 s61, 0, s62
	s_add_u32 s3, s3, s57
	s_cselect_b32 s57, -1, 0
	s_mul_hi_u32 s62, s53, s3
	s_cmp_lg_u32 s57, 0
	s_mul_i32 s57, s53, s3
	s_addc_u32 s0, s0, s61
	s_mul_i32 s56, s56, s3
	s_mul_i32 s53, s53, s0
	s_mul_hi_u32 s61, s3, s57
	s_add_i32 s53, s62, s53
	s_mul_hi_u32 s62, s0, s57
	s_add_i32 s53, s53, s56
	s_mul_i32 s56, s0, s57
	s_mul_i32 s64, s3, s53
	s_mul_hi_u32 s63, s3, s53
	s_add_u32 s61, s61, s64
	s_addc_u32 s63, 0, s63
	s_mul_hi_u32 s57, s0, s53
	s_add_u32 s56, s61, s56
	s_mul_i32 s53, s0, s53
	s_addc_u32 s56, s63, s62
	s_addc_u32 s57, s57, 0
	s_add_u32 s53, s56, s53
	s_addc_u32 s56, 0, s57
	s_add_u32 s3, s3, s53
	s_cselect_b32 s53, -1, 0
	v_mul_hi_u32 v30, v3, s3
	s_cmp_lg_u32 s53, 0
	v_mad_u64_u32 v[24:25], null, v29, s3, 0
	s_addc_u32 s0, s0, s56
	v_mad_u64_u32 v[20:21], null, v3, s0, 0
	v_mad_u64_u32 v[26:27], null, v29, s0, 0
	v_add_co_u32 v20, vcc_lo, v30, v20
	v_add_co_ci_u32_e64 v21, null, 0, v21, vcc_lo
	v_add_co_u32 v20, vcc_lo, v20, v24
	v_add_co_ci_u32_e32 v20, vcc_lo, v21, v25, vcc_lo
	v_add_co_ci_u32_e32 v21, vcc_lo, 0, v27, vcc_lo
	v_add_co_u32 v24, vcc_lo, v20, v26
	v_add_co_ci_u32_e64 v25, null, 0, v21, vcc_lo
	v_mul_lo_u32 v26, s55, v24
	v_mad_u64_u32 v[20:21], null, s54, v24, 0
	v_mul_lo_u32 v27, s54, v25
	v_sub_co_u32 v3, vcc_lo, v3, v20
	v_add3_u32 v21, v21, v27, v26
	v_sub_nc_u32_e32 v26, v29, v21
	v_sub_co_ci_u32_e64 v21, null, v29, v21, vcc_lo
	v_subrev_co_ci_u32_e64 v20, null, s55, v26, vcc_lo
	v_add_co_u32 v26, s0, v24, 2
	v_add_co_ci_u32_e64 v27, null, 0, v25, s0
	v_sub_co_u32 v30, s0, v3, s54
	v_subrev_co_ci_u32_e64 v20, null, 0, v20, s0
	v_cmp_le_u32_e32 vcc_lo, s54, v30
	v_cndmask_b32_e64 v29, 0, -1, vcc_lo
	v_cmp_le_u32_e32 vcc_lo, s55, v20
	v_cndmask_b32_e64 v30, 0, -1, vcc_lo
	;; [unrolled: 2-line block ×4, first 2 shown]
	v_cmp_eq_u32_e32 vcc_lo, s55, v20
	v_cndmask_b32_e32 v20, v30, v29, vcc_lo
	v_add_co_u32 v29, vcc_lo, v24, 1
	v_add_co_ci_u32_e64 v30, null, 0, v25, vcc_lo
	v_cmp_eq_u32_e32 vcc_lo, s55, v21
	v_xor_b32_e32 v21, s2, v28
	v_cndmask_b32_e32 v3, v31, v3, vcc_lo
	v_cmp_ne_u32_e32 vcc_lo, 0, v20
	v_cmp_ne_u32_e64 s0, 0, v3
	v_cndmask_b32_e32 v3, v29, v26, vcc_lo
	v_cndmask_b32_e32 v20, v30, v27, vcc_lo
	v_cndmask_b32_e64 v3, v24, v3, s0
	v_cndmask_b32_e64 v20, v25, v20, s0
	v_xor_b32_e32 v3, v3, v21
	v_xor_b32_e32 v24, v20, v21
	v_sub_co_u32 v20, vcc_lo, v3, v21
	v_sub_co_ci_u32_e64 v21, null, v24, v21, vcc_lo
.LBB1_38:                               ;   in Loop: Header=BB1_4 Depth=1
	s_andn2_saveexec_b32 s0, s1
	s_cbranch_execz .LBB1_40
; %bb.39:                               ;   in Loop: Header=BB1_4 Depth=1
	v_cvt_f32_u32_e32 v3, s40
	s_sub_i32 s1, 0, s40
	v_rcp_iflag_f32_e32 v3, v3
	v_mul_f32_e32 v3, 0x4f7ffffe, v3
	v_cvt_u32_f32_e32 v3, v3
	v_mul_lo_u32 v20, s1, v3
	v_mul_hi_u32 v20, v3, v20
	v_add_nc_u32_e32 v3, v3, v20
	v_mul_hi_u32 v3, v12, v3
	v_mul_lo_u32 v20, v3, s40
	v_add_nc_u32_e32 v21, 1, v3
	v_sub_nc_u32_e32 v20, v12, v20
	v_subrev_nc_u32_e32 v24, s40, v20
	v_cmp_le_u32_e32 vcc_lo, s40, v20
	v_cndmask_b32_e32 v20, v20, v24, vcc_lo
	v_cndmask_b32_e32 v3, v3, v21, vcc_lo
	v_cmp_le_u32_e32 vcc_lo, s40, v20
	v_add_nc_u32_e32 v21, 1, v3
	v_cndmask_b32_e32 v20, v3, v21, vcc_lo
	v_mov_b32_e32 v21, v2
.LBB1_40:                               ;   in Loop: Header=BB1_4 Depth=1
	s_or_b32 exec_lo, exec_lo, s0
	v_add_co_u32 v20, vcc_lo, v20, 1
	v_add_co_ci_u32_e64 v21, null, 0, v21, vcc_lo
	v_mov_b32_e32 v35, 0
	s_mov_b32 s53, exec_lo
	v_cmp_gt_i64_e32 vcc_lo, s[48:49], v[20:21]
	v_cndmask_b32_e32 v21, s49, v21, vcc_lo
	v_cndmask_b32_e32 v20, s48, v20, vcc_lo
	v_cmpx_lt_i64_e64 v[18:19], v[20:21]
	s_cbranch_execz .LBB1_3
; %bb.41:                               ;   in Loop: Header=BB1_4 Depth=1
	v_add_co_u32 v22, vcc_lo, v22, 1
	v_add_co_ci_u32_e64 v23, null, 0, v23, vcc_lo
	v_mul_lo_u32 v30, s43, v10
	v_mul_lo_u32 v31, s42, v11
	v_mad_u64_u32 v[26:27], null, s42, v10, 0
	v_cmp_gt_i64_e32 vcc_lo, s[50:51], v[22:23]
	v_lshlrev_b64 v[24:25], 2, v[10:11]
	v_mul_lo_u32 v3, v15, s20
	v_mul_lo_u32 v28, v14, s21
	v_mad_u64_u32 v[14:15], null, v14, s20, 0
	v_cndmask_b32_e32 v23, s51, v23, vcc_lo
	v_cndmask_b32_e32 v22, s50, v22, vcc_lo
	v_add_co_u32 v33, vcc_lo, s38, v0
	v_mul_lo_u32 v29, s12, v5
	v_mul_lo_u32 v32, s13, v4
	v_mad_u64_u32 v[24:25], null, s12, v4, v[24:25]
	v_add_co_ci_u32_e64 v35, null, s39, v1, vcc_lo
	v_add3_u32 v27, v27, v31, v30
	v_add3_u32 v15, v15, v28, v3
	v_sub_co_u32 v3, vcc_lo, v33, v26
	v_add3_u32 v25, v32, v25, v29
	v_sub_co_ci_u32_e64 v26, null, v35, v27, vcc_lo
	v_sub_co_u32 v3, vcc_lo, v3, v16
	v_cmp_lt_i64_e64 s0, v[10:11], v[22:23]
	v_sub_co_ci_u32_e64 v26, null, v26, v17, vcc_lo
	v_add_co_u32 v16, vcc_lo, s10, v24
	v_add_co_ci_u32_e64 v17, null, s11, v25, vcc_lo
	v_sub_co_u32 v8, vcc_lo, v3, v8
	v_sub_co_ci_u32_e64 v9, null, v26, v9, vcc_lo
	v_mov_b32_e32 v35, 0
	s_mov_b32 s61, 0
	s_branch .LBB1_44
.LBB1_42:                               ;   in Loop: Header=BB1_44 Depth=2
	s_or_b32 exec_lo, exec_lo, s3
.LBB1_43:                               ;   in Loop: Header=BB1_44 Depth=2
	s_or_b32 exec_lo, exec_lo, s62
	v_add_co_u32 v18, vcc_lo, v18, 1
	v_add_co_ci_u32_e64 v19, null, 0, v19, vcc_lo
	v_cmp_ge_i64_e32 vcc_lo, v[18:19], v[20:21]
	s_or_b32 s61, vcc_lo, s61
	s_andn2_b32 exec_lo, exec_lo, s61
	s_cbranch_execz .LBB1_2
.LBB1_44:                               ;   Parent Loop BB1_4 Depth=1
                                        ; =>  This Loop Header: Depth=2
                                        ;       Child Loop BB1_52 Depth 3
	s_and_saveexec_b32 s62, s0
	s_cbranch_execz .LBB1_43
; %bb.45:                               ;   in Loop: Header=BB1_44 Depth=2
	v_mul_lo_u32 v3, v19, s40
	v_mul_lo_u32 v26, v18, s41
	v_mad_u64_u32 v[24:25], null, v18, s40, 0
	s_mov_b32 s1, exec_lo
	v_add3_u32 v3, v25, v26, v3
	v_sub_co_u32 v26, vcc_lo, v12, v24
                                        ; implicit-def: $vgpr24_vgpr25
	v_sub_co_ci_u32_e64 v27, null, v13, v3, vcc_lo
	v_or_b32_e32 v3, s45, v27
	v_cmpx_ne_u64_e32 0, v[2:3]
	s_xor_b32 s56, exec_lo, s1
	s_cbranch_execz .LBB1_47
; %bb.46:                               ;   in Loop: Header=BB1_44 Depth=2
	s_ashr_i32 s2, s45, 31
	v_ashrrev_i32_e32 v32, 31, v27
	s_add_u32 s54, s44, s2
	s_mov_b32 s3, s2
	s_addc_u32 s55, s45, s2
	s_xor_b64 s[54:55], s[54:55], s[2:3]
	v_add_co_u32 v25, vcc_lo, v26, v32
	v_cvt_f32_u32_e32 v3, s54
	v_cvt_f32_u32_e32 v24, s55
	s_sub_u32 s57, 0, s54
	s_subb_u32 s63, 0, s55
	v_add_co_ci_u32_e64 v28, null, v27, v32, vcc_lo
	v_fmac_f32_e32 v3, 0x4f800000, v24
	v_xor_b32_e32 v33, v28, v32
	v_rcp_f32_e32 v3, v3
	v_mul_f32_e32 v3, 0x5f7ffffc, v3
	v_mul_f32_e32 v24, 0x2f800000, v3
	v_trunc_f32_e32 v24, v24
	v_fmac_f32_e32 v3, 0xcf800000, v24
	v_cvt_u32_f32_e32 v24, v24
	v_cvt_u32_f32_e32 v3, v3
	v_readfirstlane_b32 s1, v24
	v_readfirstlane_b32 s3, v3
	s_mul_i32 s64, s57, s1
	v_xor_b32_e32 v3, v25, v32
	s_mul_hi_u32 s66, s57, s3
	s_mul_i32 s65, s63, s3
	s_add_i32 s64, s66, s64
	s_mul_i32 s67, s57, s3
	s_add_i32 s64, s64, s65
	s_mul_hi_u32 s66, s3, s67
	s_mul_i32 s69, s3, s64
	s_mul_hi_u32 s68, s1, s67
	s_mul_i32 s65, s1, s67
	s_mul_hi_u32 s67, s3, s64
	s_add_u32 s66, s66, s69
	s_addc_u32 s67, 0, s67
	s_mul_hi_u32 s70, s1, s64
	s_add_u32 s65, s66, s65
	s_mul_i32 s64, s1, s64
	s_addc_u32 s65, s67, s68
	s_addc_u32 s66, s70, 0
	s_add_u32 s64, s65, s64
	s_addc_u32 s65, 0, s66
	s_add_u32 s3, s3, s64
	s_cselect_b32 s64, -1, 0
	s_mul_hi_u32 s66, s57, s3
	s_cmp_lg_u32 s64, 0
	s_mul_i32 s64, s57, s3
	s_addc_u32 s1, s1, s65
	s_mul_i32 s63, s63, s3
	s_mul_i32 s57, s57, s1
	s_mul_hi_u32 s65, s3, s64
	s_add_i32 s57, s66, s57
	s_mul_hi_u32 s66, s1, s64
	s_add_i32 s57, s57, s63
	s_mul_i32 s63, s1, s64
	s_mul_i32 s68, s3, s57
	s_mul_hi_u32 s67, s3, s57
	s_add_u32 s65, s65, s68
	s_addc_u32 s67, 0, s67
	s_mul_hi_u32 s64, s1, s57
	s_add_u32 s63, s65, s63
	s_mul_i32 s57, s1, s57
	s_addc_u32 s63, s67, s66
	s_addc_u32 s64, s64, 0
	s_add_u32 s57, s63, s57
	s_addc_u32 s63, 0, s64
	s_add_u32 s3, s3, s57
	s_cselect_b32 s57, -1, 0
	v_mul_hi_u32 v36, v3, s3
	s_cmp_lg_u32 s57, 0
	v_mad_u64_u32 v[28:29], null, v33, s3, 0
	s_addc_u32 s1, s1, s63
	v_mad_u64_u32 v[24:25], null, v3, s1, 0
	v_mad_u64_u32 v[30:31], null, v33, s1, 0
	v_add_co_u32 v24, vcc_lo, v36, v24
	v_add_co_ci_u32_e64 v25, null, 0, v25, vcc_lo
	v_add_co_u32 v24, vcc_lo, v24, v28
	v_add_co_ci_u32_e32 v24, vcc_lo, v25, v29, vcc_lo
	v_add_co_ci_u32_e32 v25, vcc_lo, 0, v31, vcc_lo
	v_add_co_u32 v28, vcc_lo, v24, v30
	v_add_co_ci_u32_e64 v29, null, 0, v25, vcc_lo
	v_mul_lo_u32 v30, s55, v28
	v_mad_u64_u32 v[24:25], null, s54, v28, 0
	v_mul_lo_u32 v31, s54, v29
	v_sub_co_u32 v3, vcc_lo, v3, v24
	v_add3_u32 v25, v25, v31, v30
	v_sub_nc_u32_e32 v30, v33, v25
	v_sub_co_ci_u32_e64 v25, null, v33, v25, vcc_lo
	v_subrev_co_ci_u32_e64 v24, null, s55, v30, vcc_lo
	v_add_co_u32 v30, s1, v28, 2
	v_add_co_ci_u32_e64 v31, null, 0, v29, s1
	v_sub_co_u32 v36, s1, v3, s54
	v_subrev_co_ci_u32_e64 v24, null, 0, v24, s1
	v_cmp_le_u32_e32 vcc_lo, s54, v36
	v_cndmask_b32_e64 v33, 0, -1, vcc_lo
	v_cmp_le_u32_e32 vcc_lo, s55, v24
	v_cndmask_b32_e64 v36, 0, -1, vcc_lo
	;; [unrolled: 2-line block ×4, first 2 shown]
	v_cmp_eq_u32_e32 vcc_lo, s55, v24
	v_cndmask_b32_e32 v24, v36, v33, vcc_lo
	v_add_co_u32 v33, vcc_lo, v28, 1
	v_add_co_ci_u32_e64 v36, null, 0, v29, vcc_lo
	v_cmp_eq_u32_e32 vcc_lo, s55, v25
	v_xor_b32_e32 v25, s2, v32
	v_cndmask_b32_e32 v3, v37, v3, vcc_lo
	v_cmp_ne_u32_e32 vcc_lo, 0, v24
	v_cmp_ne_u32_e64 s1, 0, v3
	v_cndmask_b32_e32 v3, v33, v30, vcc_lo
	v_cndmask_b32_e32 v24, v36, v31, vcc_lo
	v_cndmask_b32_e64 v3, v28, v3, s1
	v_cndmask_b32_e64 v24, v29, v24, s1
	v_xor_b32_e32 v3, v3, v25
	v_xor_b32_e32 v28, v24, v25
	v_sub_co_u32 v24, vcc_lo, v3, v25
	v_sub_co_ci_u32_e64 v25, null, v28, v25, vcc_lo
.LBB1_47:                               ;   in Loop: Header=BB1_44 Depth=2
	s_andn2_saveexec_b32 s1, s56
	s_cbranch_execz .LBB1_49
; %bb.48:                               ;   in Loop: Header=BB1_44 Depth=2
	v_cvt_f32_u32_e32 v3, s44
	s_sub_i32 s2, 0, s44
	v_rcp_iflag_f32_e32 v3, v3
	v_mul_f32_e32 v3, 0x4f7ffffe, v3
	v_cvt_u32_f32_e32 v3, v3
	v_mul_lo_u32 v24, s2, v3
	v_mul_hi_u32 v24, v3, v24
	v_add_nc_u32_e32 v3, v3, v24
	v_mul_hi_u32 v3, v26, v3
	v_mul_lo_u32 v24, v3, s44
	v_add_nc_u32_e32 v25, 1, v3
	v_sub_nc_u32_e32 v24, v26, v24
	v_subrev_nc_u32_e32 v28, s44, v24
	v_cmp_le_u32_e32 vcc_lo, s44, v24
	v_cndmask_b32_e32 v24, v24, v28, vcc_lo
	v_cndmask_b32_e32 v3, v3, v25, vcc_lo
	v_cmp_le_u32_e32 vcc_lo, s44, v24
	v_add_nc_u32_e32 v25, 1, v3
	v_cndmask_b32_e32 v24, v3, v25, vcc_lo
	v_mov_b32_e32 v25, v2
.LBB1_49:                               ;   in Loop: Header=BB1_44 Depth=2
	s_or_b32 exec_lo, exec_lo, s1
	v_mul_lo_u32 v3, v25, s44
	v_mul_lo_u32 v30, v24, s45
	v_mad_u64_u32 v[28:29], null, v24, s44, 0
	v_add_co_u32 v24, vcc_lo, v24, v14
	v_add_co_ci_u32_e64 v25, null, v25, v15, vcc_lo
	s_mov_b32 s3, 0
	v_add3_u32 v3, v29, v30, v3
	v_mul_lo_u32 v29, v25, s22
	v_mul_lo_u32 v30, v24, s23
	v_mad_u64_u32 v[24:25], null, v24, s22, 0
	v_sub_co_u32 v26, vcc_lo, v26, v28
	v_sub_co_ci_u32_e64 v27, null, v27, v3, vcc_lo
	v_add3_u32 v25, v25, v30, v29
	v_cmp_eq_u64_e64 s1, 0, v[26:27]
	v_mov_b32_e32 v27, v9
	v_mov_b32_e32 v29, v17
	;; [unrolled: 1-line block ×6, first 2 shown]
	s_branch .LBB1_52
.LBB1_50:                               ;   in Loop: Header=BB1_52 Depth=3
	s_or_b32 exec_lo, exec_lo, s2
.LBB1_51:                               ;   in Loop: Header=BB1_52 Depth=3
	s_or_b32 exec_lo, exec_lo, s63
	v_add_co_u32 v30, vcc_lo, v30, 1
	v_add_co_ci_u32_e64 v31, null, 0, v31, vcc_lo
	v_add_co_u32 v28, vcc_lo, v28, 4
	v_add_co_ci_u32_e64 v29, null, 0, v29, vcc_lo
	v_cmp_ge_i64_e32 vcc_lo, v[30:31], v[22:23]
	v_sub_co_u32 v26, s2, v26, s42
	v_subrev_co_ci_u32_e64 v27, null, s43, v27, s2
	s_or_b32 s3, vcc_lo, s3
	s_andn2_b32 exec_lo, exec_lo, s3
	s_cbranch_execz .LBB1_42
.LBB1_52:                               ;   Parent Loop BB1_4 Depth=1
                                        ;     Parent Loop BB1_44 Depth=2
                                        ; =>    This Inner Loop Header: Depth=3
	s_and_saveexec_b32 s63, s1
	s_cbranch_execz .LBB1_51
; %bb.53:                               ;   in Loop: Header=BB1_52 Depth=3
	v_or_b32_e32 v3, s47, v27
                                        ; implicit-def: $vgpr32_vgpr33
	s_mov_b32 s2, exec_lo
	v_cmpx_ne_u64_e32 0, v[2:3]
	s_xor_b32 s64, exec_lo, s2
	s_cbranch_execz .LBB1_55
; %bb.54:                               ;   in Loop: Header=BB1_52 Depth=3
	s_ashr_i32 s54, s47, 31
	v_ashrrev_i32_e32 v40, 31, v27
	s_add_u32 s56, s46, s54
	s_mov_b32 s55, s54
	s_addc_u32 s57, s47, s54
	s_xor_b64 s[56:57], s[56:57], s[54:55]
	v_add_co_u32 v33, vcc_lo, v26, v40
	v_cvt_f32_u32_e32 v3, s56
	v_cvt_f32_u32_e32 v32, s57
	s_sub_u32 s65, 0, s56
	s_subb_u32 s66, 0, s57
	v_add_co_ci_u32_e64 v36, null, v27, v40, vcc_lo
	v_fmac_f32_e32 v3, 0x4f800000, v32
	v_xor_b32_e32 v41, v36, v40
	v_rcp_f32_e32 v3, v3
	v_mul_f32_e32 v3, 0x5f7ffffc, v3
	v_mul_f32_e32 v32, 0x2f800000, v3
	v_trunc_f32_e32 v32, v32
	v_fmac_f32_e32 v3, 0xcf800000, v32
	v_cvt_u32_f32_e32 v32, v32
	v_cvt_u32_f32_e32 v3, v3
	v_readfirstlane_b32 s2, v32
	v_readfirstlane_b32 s55, v3
	s_mul_i32 s67, s65, s2
	v_xor_b32_e32 v3, v33, v40
	s_mul_hi_u32 s69, s65, s55
	s_mul_i32 s68, s66, s55
	s_add_i32 s67, s69, s67
	s_mul_i32 s70, s65, s55
	s_add_i32 s67, s67, s68
	s_mul_hi_u32 s69, s55, s70
	s_mul_i32 s72, s55, s67
	s_mul_hi_u32 s71, s2, s70
	s_mul_i32 s68, s2, s70
	s_mul_hi_u32 s70, s55, s67
	s_add_u32 s69, s69, s72
	s_addc_u32 s70, 0, s70
	s_mul_hi_u32 s73, s2, s67
	s_add_u32 s68, s69, s68
	s_mul_i32 s67, s2, s67
	s_addc_u32 s68, s70, s71
	s_addc_u32 s69, s73, 0
	s_add_u32 s67, s68, s67
	s_addc_u32 s68, 0, s69
	s_add_u32 s55, s55, s67
	s_cselect_b32 s67, -1, 0
	s_mul_hi_u32 s69, s65, s55
	s_cmp_lg_u32 s67, 0
	s_mul_i32 s67, s65, s55
	s_addc_u32 s2, s2, s68
	s_mul_i32 s66, s66, s55
	s_mul_i32 s65, s65, s2
	s_mul_hi_u32 s68, s55, s67
	s_add_i32 s65, s69, s65
	s_mul_hi_u32 s69, s2, s67
	s_add_i32 s65, s65, s66
	s_mul_i32 s66, s2, s67
	s_mul_i32 s71, s55, s65
	s_mul_hi_u32 s70, s55, s65
	s_add_u32 s68, s68, s71
	s_addc_u32 s70, 0, s70
	s_mul_hi_u32 s67, s2, s65
	s_add_u32 s66, s68, s66
	s_mul_i32 s65, s2, s65
	s_addc_u32 s66, s70, s69
	s_addc_u32 s67, s67, 0
	s_add_u32 s65, s66, s65
	s_addc_u32 s66, 0, s67
	s_add_u32 s55, s55, s65
	s_cselect_b32 s65, -1, 0
	v_mul_hi_u32 v42, v3, s55
	s_cmp_lg_u32 s65, 0
	v_mad_u64_u32 v[36:37], null, v41, s55, 0
	s_addc_u32 s2, s2, s66
	v_mad_u64_u32 v[32:33], null, v3, s2, 0
	v_mad_u64_u32 v[38:39], null, v41, s2, 0
	v_add_co_u32 v32, vcc_lo, v42, v32
	v_add_co_ci_u32_e64 v33, null, 0, v33, vcc_lo
	v_add_co_u32 v32, vcc_lo, v32, v36
	v_add_co_ci_u32_e32 v32, vcc_lo, v33, v37, vcc_lo
	v_add_co_ci_u32_e32 v33, vcc_lo, 0, v39, vcc_lo
	v_add_co_u32 v36, vcc_lo, v32, v38
	v_add_co_ci_u32_e64 v37, null, 0, v33, vcc_lo
	v_mul_lo_u32 v38, s57, v36
	v_mad_u64_u32 v[32:33], null, s56, v36, 0
	v_mul_lo_u32 v39, s56, v37
	v_sub_co_u32 v3, vcc_lo, v3, v32
	v_add3_u32 v33, v33, v39, v38
	v_sub_nc_u32_e32 v38, v41, v33
	v_sub_co_ci_u32_e64 v33, null, v41, v33, vcc_lo
	v_subrev_co_ci_u32_e64 v32, null, s57, v38, vcc_lo
	v_add_co_u32 v38, s2, v36, 2
	v_add_co_ci_u32_e64 v39, null, 0, v37, s2
	v_sub_co_u32 v42, s2, v3, s56
	v_subrev_co_ci_u32_e64 v32, null, 0, v32, s2
	v_cmp_le_u32_e32 vcc_lo, s56, v42
	v_cndmask_b32_e64 v41, 0, -1, vcc_lo
	v_cmp_le_u32_e32 vcc_lo, s57, v32
	v_cndmask_b32_e64 v42, 0, -1, vcc_lo
	;; [unrolled: 2-line block ×4, first 2 shown]
	v_cmp_eq_u32_e32 vcc_lo, s57, v32
	v_cndmask_b32_e32 v32, v42, v41, vcc_lo
	v_add_co_u32 v41, vcc_lo, v36, 1
	v_add_co_ci_u32_e64 v42, null, 0, v37, vcc_lo
	v_cmp_eq_u32_e32 vcc_lo, s57, v33
	v_xor_b32_e32 v33, s54, v40
	v_cndmask_b32_e32 v3, v43, v3, vcc_lo
	v_cmp_ne_u32_e32 vcc_lo, 0, v32
	v_cmp_ne_u32_e64 s2, 0, v3
	v_cndmask_b32_e32 v3, v41, v38, vcc_lo
	v_cndmask_b32_e32 v32, v42, v39, vcc_lo
	v_cndmask_b32_e64 v3, v36, v3, s2
	v_cndmask_b32_e64 v32, v37, v32, s2
	v_xor_b32_e32 v3, v3, v33
	v_xor_b32_e32 v36, v32, v33
	v_sub_co_u32 v32, vcc_lo, v3, v33
	v_sub_co_ci_u32_e64 v33, null, v36, v33, vcc_lo
.LBB1_55:                               ;   in Loop: Header=BB1_52 Depth=3
	s_andn2_saveexec_b32 s2, s64
	s_cbranch_execz .LBB1_57
; %bb.56:                               ;   in Loop: Header=BB1_52 Depth=3
	v_cvt_f32_u32_e32 v3, s46
	s_sub_i32 s54, 0, s46
	v_rcp_iflag_f32_e32 v3, v3
	v_mul_f32_e32 v3, 0x4f7ffffe, v3
	v_cvt_u32_f32_e32 v3, v3
	v_mul_lo_u32 v32, s54, v3
	v_mul_hi_u32 v32, v3, v32
	v_add_nc_u32_e32 v3, v3, v32
	v_mul_hi_u32 v3, v26, v3
	v_mul_lo_u32 v32, v3, s46
	v_add_nc_u32_e32 v33, 1, v3
	v_sub_nc_u32_e32 v32, v26, v32
	v_subrev_nc_u32_e32 v36, s46, v32
	v_cmp_le_u32_e32 vcc_lo, s46, v32
	v_cndmask_b32_e32 v32, v32, v36, vcc_lo
	v_cndmask_b32_e32 v3, v3, v33, vcc_lo
	v_cmp_le_u32_e32 vcc_lo, s46, v32
	v_add_nc_u32_e32 v33, 1, v3
	v_cndmask_b32_e32 v32, v3, v33, vcc_lo
	v_mov_b32_e32 v33, v2
.LBB1_57:                               ;   in Loop: Header=BB1_52 Depth=3
	s_or_b32 exec_lo, exec_lo, s2
	v_mul_lo_u32 v3, v33, s46
	v_mul_lo_u32 v38, v32, s47
	v_mad_u64_u32 v[36:37], null, v32, s46, 0
	s_mov_b32 s2, exec_lo
	v_add3_u32 v3, v37, v38, v3
	v_sub_co_u32 v36, vcc_lo, v26, v36
	v_sub_co_ci_u32_e64 v37, null, v27, v3, vcc_lo
	v_cmpx_eq_u64_e32 0, v[36:37]
	s_cbranch_execz .LBB1_50
; %bb.58:                               ;   in Loop: Header=BB1_52 Depth=3
	v_add_co_u32 v3, vcc_lo, v24, v32
	v_add_co_ci_u32_e64 v32, null, v25, v33, vcc_lo
	v_mul_lo_u32 v36, v3, s49
	v_mul_lo_u32 v37, v32, s48
	v_mad_u64_u32 v[32:33], null, v3, s48, v[18:19]
	v_add3_u32 v3, v37, v33, v36
	v_mul_lo_u32 v36, s29, v32
	v_mad_u64_u32 v[32:33], null, s28, v32, v[28:29]
	v_mul_lo_u32 v3, s28, v3
	v_add3_u32 v33, v36, v33, v3
	global_load_dword v3, v[32:33], off
	s_waitcnt vmcnt(0)
	v_add_f32_e32 v35, v35, v3
	s_branch .LBB1_50
.LBB1_59:
	s_endpgm
	.section	.rodata,"a",@progbits
	.p2align	6, 0x0
	.amdhsa_kernel _ZN2at6native21col2im_batched_kernelIfEEvlPKT_llllllllllllllPS2_l
		.amdhsa_group_segment_fixed_size 0
		.amdhsa_private_segment_fixed_size 0
		.amdhsa_kernarg_size 400
		.amdhsa_user_sgpr_count 6
		.amdhsa_user_sgpr_private_segment_buffer 1
		.amdhsa_user_sgpr_dispatch_ptr 0
		.amdhsa_user_sgpr_queue_ptr 0
		.amdhsa_user_sgpr_kernarg_segment_ptr 1
		.amdhsa_user_sgpr_dispatch_id 0
		.amdhsa_user_sgpr_flat_scratch_init 0
		.amdhsa_user_sgpr_private_segment_size 0
		.amdhsa_wavefront_size32 1
		.amdhsa_uses_dynamic_stack 0
		.amdhsa_system_sgpr_private_segment_wavefront_offset 0
		.amdhsa_system_sgpr_workgroup_id_x 1
		.amdhsa_system_sgpr_workgroup_id_y 0
		.amdhsa_system_sgpr_workgroup_id_z 0
		.amdhsa_system_sgpr_workgroup_info 0
		.amdhsa_system_vgpr_workitem_id 0
		.amdhsa_next_free_vgpr 44
		.amdhsa_next_free_sgpr 74
		.amdhsa_reserve_vcc 1
		.amdhsa_reserve_flat_scratch 0
		.amdhsa_float_round_mode_32 0
		.amdhsa_float_round_mode_16_64 0
		.amdhsa_float_denorm_mode_32 3
		.amdhsa_float_denorm_mode_16_64 3
		.amdhsa_dx10_clamp 1
		.amdhsa_ieee_mode 1
		.amdhsa_fp16_overflow 0
		.amdhsa_workgroup_processor_mode 1
		.amdhsa_memory_ordered 1
		.amdhsa_forward_progress 1
		.amdhsa_shared_vgpr_count 0
		.amdhsa_exception_fp_ieee_invalid_op 0
		.amdhsa_exception_fp_denorm_src 0
		.amdhsa_exception_fp_ieee_div_zero 0
		.amdhsa_exception_fp_ieee_overflow 0
		.amdhsa_exception_fp_ieee_underflow 0
		.amdhsa_exception_fp_ieee_inexact 0
		.amdhsa_exception_int_div_zero 0
	.end_amdhsa_kernel
	.section	.text._ZN2at6native21col2im_batched_kernelIfEEvlPKT_llllllllllllllPS2_l,"axG",@progbits,_ZN2at6native21col2im_batched_kernelIfEEvlPKT_llllllllllllllPS2_l,comdat
.Lfunc_end1:
	.size	_ZN2at6native21col2im_batched_kernelIfEEvlPKT_llllllllllllllPS2_l, .Lfunc_end1-_ZN2at6native21col2im_batched_kernelIfEEvlPKT_llllllllllllllPS2_l
                                        ; -- End function
	.set _ZN2at6native21col2im_batched_kernelIfEEvlPKT_llllllllllllllPS2_l.num_vgpr, 44
	.set _ZN2at6native21col2im_batched_kernelIfEEvlPKT_llllllllllllllPS2_l.num_agpr, 0
	.set _ZN2at6native21col2im_batched_kernelIfEEvlPKT_llllllllllllllPS2_l.numbered_sgpr, 74
	.set _ZN2at6native21col2im_batched_kernelIfEEvlPKT_llllllllllllllPS2_l.num_named_barrier, 0
	.set _ZN2at6native21col2im_batched_kernelIfEEvlPKT_llllllllllllllPS2_l.private_seg_size, 0
	.set _ZN2at6native21col2im_batched_kernelIfEEvlPKT_llllllllllllllPS2_l.uses_vcc, 1
	.set _ZN2at6native21col2im_batched_kernelIfEEvlPKT_llllllllllllllPS2_l.uses_flat_scratch, 0
	.set _ZN2at6native21col2im_batched_kernelIfEEvlPKT_llllllllllllllPS2_l.has_dyn_sized_stack, 0
	.set _ZN2at6native21col2im_batched_kernelIfEEvlPKT_llllllllllllllPS2_l.has_recursion, 0
	.set _ZN2at6native21col2im_batched_kernelIfEEvlPKT_llllllllllllllPS2_l.has_indirect_call, 0
	.section	.AMDGPU.csdata,"",@progbits
; Kernel info:
; codeLenInByte = 8960
; TotalNumSgprs: 76
; NumVgprs: 44
; ScratchSize: 0
; MemoryBound: 0
; FloatMode: 240
; IeeeMode: 1
; LDSByteSize: 0 bytes/workgroup (compile time only)
; SGPRBlocks: 0
; VGPRBlocks: 5
; NumSGPRsForWavesPerEU: 76
; NumVGPRsForWavesPerEU: 44
; Occupancy: 16
; WaveLimiterHint : 0
; COMPUTE_PGM_RSRC2:SCRATCH_EN: 0
; COMPUTE_PGM_RSRC2:USER_SGPR: 6
; COMPUTE_PGM_RSRC2:TRAP_HANDLER: 0
; COMPUTE_PGM_RSRC2:TGID_X_EN: 1
; COMPUTE_PGM_RSRC2:TGID_Y_EN: 0
; COMPUTE_PGM_RSRC2:TGID_Z_EN: 0
; COMPUTE_PGM_RSRC2:TIDIG_COMP_CNT: 0
	.section	.text._ZN2at6native21col2im_batched_kernelIN3c107complexIdEEEEvlPKT_llllllllllllllPS5_l,"axG",@progbits,_ZN2at6native21col2im_batched_kernelIN3c107complexIdEEEEvlPKT_llllllllllllllPS5_l,comdat
	.protected	_ZN2at6native21col2im_batched_kernelIN3c107complexIdEEEEvlPKT_llllllllllllllPS5_l ; -- Begin function _ZN2at6native21col2im_batched_kernelIN3c107complexIdEEEEvlPKT_llllllllllllllPS5_l
	.globl	_ZN2at6native21col2im_batched_kernelIN3c107complexIdEEEEvlPKT_llllllllllllllPS5_l
	.p2align	8
	.type	_ZN2at6native21col2im_batched_kernelIN3c107complexIdEEEEvlPKT_llllllllllllllPS5_l,@function
_ZN2at6native21col2im_batched_kernelIN3c107complexIdEEEEvlPKT_llllllllllllllPS5_l: ; @_ZN2at6native21col2im_batched_kernelIN3c107complexIdEEEEvlPKT_llllllllllllllPS5_l
; %bb.0:
	s_clause 0x1
	s_load_dwordx16 s[8:23], s[4:5], 0x0
	s_load_dword s2, s[4:5], 0x9c
	v_mov_b32_e32 v4, 0
	v_mov_b32_e32 v1, v4
	s_waitcnt lgkmcnt(0)
	s_mul_i32 s0, s14, s9
	s_mul_hi_u32 s1, s14, s8
	s_mul_i32 s3, s15, s8
	s_add_i32 s0, s1, s0
	s_mul_i32 s14, s14, s8
	s_add_i32 s15, s0, s3
	s_add_u32 s0, s4, 0x90
	s_addc_u32 s1, s5, 0
	s_and_b32 s2, s2, 0xffff
	s_mov_b32 s3, exec_lo
	v_mad_u64_u32 v[6:7], null, s2, s6, v[0:1]
	v_cmpx_gt_i64_e64 s[14:15], v[6:7]
	s_cbranch_execz .LBB2_59
; %bb.1:
	s_load_dwordx16 s[36:51], s[4:5], 0x40
	s_load_dword s0, s[0:1], 0x0
	v_cvt_f32_u32_e32 v0, s8
	s_mul_i32 s1, s18, s17
	s_mul_hi_u32 s3, s18, s16
	s_mul_i32 s24, s19, s16
	s_add_i32 s1, s3, s1
	s_load_dwordx4 s[4:7], s[4:5], 0x80
	v_rcp_iflag_f32_e32 v0, v0
	s_add_i32 s59, s1, s24
	s_add_u32 s1, s22, -1
	s_addc_u32 s3, s23, -1
	s_mul_i32 s33, s18, s16
	s_mov_b32 s58, 0
	v_mul_f32_e32 v0, 0x4f7ffffe, v0
	s_waitcnt lgkmcnt(0)
	s_mul_i32 s3, s46, s3
	s_mul_hi_u32 s25, s46, s1
	s_mul_i32 s26, s47, s1
	s_mul_i32 s60, s0, s2
	s_add_i32 s0, s25, s3
	s_mul_i32 s24, s46, s1
	s_add_i32 s25, s0, s26
	s_add_u32 s0, s20, -1
	s_addc_u32 s1, s21, -1
	s_mul_hi_u32 s2, s44, s0
	s_mul_i32 s1, s44, s1
	s_mul_i32 s3, s45, s0
	s_add_i32 s1, s2, s1
	v_cvt_u32_f32_e32 v38, v0
	s_mul_i32 s30, s44, s0
	s_add_i32 s31, s1, s3
	s_not_b64 s[26:27], s[24:25]
	s_lshl_b64 s[28:29], s[50:51], 4
	s_lshl_b64 s[12:13], s[12:13], 4
	s_not_b64 s[34:35], s[30:31]
	s_ashr_i32 s52, s9, 31
	s_branch .LBB2_4
.LBB2_2:                                ;   in Loop: Header=BB2_4 Depth=1
	s_or_b32 exec_lo, exec_lo, s61
.LBB2_3:                                ;   in Loop: Header=BB2_4 Depth=1
	s_or_b32 exec_lo, exec_lo, s53
	v_mul_lo_u32 v5, v9, s6
	v_mul_lo_u32 v12, v8, s7
	v_mad_u64_u32 v[8:9], null, v8, s6, 0
	v_add_co_u32 v6, vcc_lo, v6, s60
	v_lshlrev_b64 v[10:11], 4, v[10:11]
	v_add_co_ci_u32_e64 v7, null, 0, v7, vcc_lo
	v_add3_u32 v9, v9, v12, v5
	v_lshlrev_b64 v[8:9], 4, v[8:9]
	v_add_co_u32 v5, vcc_lo, s4, v8
	v_add_co_ci_u32_e64 v9, null, s5, v9, vcc_lo
	v_cmp_le_i64_e32 vcc_lo, s[14:15], v[6:7]
	v_add_co_u32 v8, s0, v5, v10
	v_add_co_ci_u32_e64 v9, null, v9, v11, s0
	s_or_b32 s58, vcc_lo, s58
	global_store_dwordx4 v[8:9], v[0:3], off
	s_andn2_b32 exec_lo, exec_lo, s58
	s_cbranch_execz .LBB2_59
.LBB2_4:                                ; =>This Loop Header: Depth=1
                                        ;     Child Loop BB2_44 Depth 2
                                        ;       Child Loop BB2_52 Depth 3
	v_or_b32_e32 v5, s9, v7
                                        ; implicit-def: $vgpr8_vgpr9
	s_mov_b32 s0, exec_lo
	v_cmpx_ne_u64_e32 0, v[4:5]
	s_xor_b32 s1, exec_lo, s0
	s_cbranch_execz .LBB2_6
; %bb.5:                                ;   in Loop: Header=BB2_4 Depth=1
	s_add_u32 s2, s8, s52
	s_mov_b32 s53, s52
	s_addc_u32 s3, s9, s52
	v_ashrrev_i32_e32 v5, 31, v7
	s_xor_b64 s[2:3], s[2:3], s[52:53]
	v_cvt_f32_u32_e32 v0, s2
	v_cvt_f32_u32_e32 v1, s3
	s_sub_u32 s0, 0, s2
	s_subb_u32 s55, 0, s3
	v_add_co_u32 v2, vcc_lo, v6, v5
	v_fmac_f32_e32 v0, 0x4f800000, v1
	v_xor_b32_e32 v10, v2, v5
	v_rcp_f32_e32 v0, v0
	v_mul_f32_e32 v0, 0x5f7ffffc, v0
	v_mul_f32_e32 v1, 0x2f800000, v0
	v_trunc_f32_e32 v1, v1
	v_fmac_f32_e32 v0, 0xcf800000, v1
	v_cvt_u32_f32_e32 v1, v1
	v_cvt_u32_f32_e32 v0, v0
	v_readfirstlane_b32 s53, v1
	v_readfirstlane_b32 s54, v0
	s_mul_i32 s56, s0, s53
	v_add_co_ci_u32_e64 v0, null, v7, v5, vcc_lo
	s_mul_hi_u32 s61, s0, s54
	s_mul_i32 s57, s55, s54
	s_add_i32 s56, s61, s56
	s_mul_i32 s62, s0, s54
	s_add_i32 s56, s56, s57
	s_mul_hi_u32 s61, s54, s62
	s_mul_i32 s64, s54, s56
	s_mul_hi_u32 s63, s53, s62
	s_mul_i32 s57, s53, s62
	s_mul_hi_u32 s62, s54, s56
	s_add_u32 s61, s61, s64
	s_addc_u32 s62, 0, s62
	s_mul_hi_u32 s65, s53, s56
	s_add_u32 s57, s61, s57
	s_mul_i32 s56, s53, s56
	s_addc_u32 s57, s62, s63
	s_addc_u32 s61, s65, 0
	s_add_u32 s56, s57, s56
	s_addc_u32 s57, 0, s61
	s_add_u32 s54, s54, s56
	s_cselect_b32 s56, -1, 0
	s_mul_hi_u32 s61, s0, s54
	s_cmp_lg_u32 s56, 0
	s_mul_i32 s56, s0, s54
	s_addc_u32 s53, s53, s57
	s_mul_i32 s55, s55, s54
	s_mul_i32 s0, s0, s53
	s_mul_hi_u32 s57, s54, s56
	s_add_i32 s0, s61, s0
	s_mul_hi_u32 s61, s53, s56
	s_add_i32 s0, s0, s55
	s_mul_i32 s55, s53, s56
	s_mul_i32 s63, s54, s0
	s_mul_hi_u32 s62, s54, s0
	s_add_u32 s57, s57, s63
	s_addc_u32 s62, 0, s62
	s_mul_hi_u32 s56, s53, s0
	s_add_u32 s55, s57, s55
	s_mul_i32 s0, s53, s0
	s_addc_u32 s55, s62, s61
	s_addc_u32 s56, s56, 0
	s_add_u32 s0, s55, s0
	s_addc_u32 s55, 0, s56
	s_add_u32 s0, s54, s0
	s_cselect_b32 s54, -1, 0
	v_xor_b32_e32 v11, v0, v5
	s_cmp_lg_u32 s54, 0
	v_mul_hi_u32 v12, v10, s0
	s_addc_u32 s53, s53, s55
	v_xor_b32_e32 v5, s52, v5
	v_mad_u64_u32 v[0:1], null, v10, s53, 0
	v_mad_u64_u32 v[2:3], null, v11, s0, 0
	;; [unrolled: 1-line block ×3, first 2 shown]
	v_add_co_u32 v0, vcc_lo, v12, v0
	v_add_co_ci_u32_e64 v1, null, 0, v1, vcc_lo
	v_add_co_u32 v0, vcc_lo, v0, v2
	v_add_co_ci_u32_e32 v0, vcc_lo, v1, v3, vcc_lo
	v_add_co_ci_u32_e32 v1, vcc_lo, 0, v9, vcc_lo
	v_add_co_u32 v2, vcc_lo, v0, v8
	v_add_co_ci_u32_e64 v3, null, 0, v1, vcc_lo
	v_mul_lo_u32 v8, s3, v2
	v_mad_u64_u32 v[0:1], null, s2, v2, 0
	v_mul_lo_u32 v9, s2, v3
	v_sub_co_u32 v0, vcc_lo, v10, v0
	v_add3_u32 v1, v1, v9, v8
	v_add_co_u32 v9, s0, v2, 2
	v_add_co_ci_u32_e64 v10, null, 0, v3, s0
	v_sub_nc_u32_e32 v8, v11, v1
	v_sub_co_u32 v12, s0, v0, s2
	v_sub_co_ci_u32_e64 v1, null, v11, v1, vcc_lo
	v_subrev_co_ci_u32_e64 v8, null, s3, v8, vcc_lo
	v_cmp_le_u32_e32 vcc_lo, s2, v12
	v_subrev_co_ci_u32_e64 v8, null, 0, v8, s0
	v_cndmask_b32_e64 v11, 0, -1, vcc_lo
	v_cmp_le_u32_e32 vcc_lo, s3, v8
	v_cndmask_b32_e64 v12, 0, -1, vcc_lo
	v_cmp_le_u32_e32 vcc_lo, s2, v0
	;; [unrolled: 2-line block ×3, first 2 shown]
	v_cndmask_b32_e64 v13, 0, -1, vcc_lo
	v_cmp_eq_u32_e32 vcc_lo, s3, v8
	v_cndmask_b32_e32 v8, v12, v11, vcc_lo
	v_add_co_u32 v11, vcc_lo, v2, 1
	v_add_co_ci_u32_e64 v12, null, 0, v3, vcc_lo
	v_cmp_eq_u32_e32 vcc_lo, s3, v1
	v_cndmask_b32_e32 v0, v13, v0, vcc_lo
	v_cmp_ne_u32_e32 vcc_lo, 0, v8
	v_cmp_ne_u32_e64 s0, 0, v0
	v_cndmask_b32_e32 v0, v11, v9, vcc_lo
	v_cndmask_b32_e32 v1, v12, v10, vcc_lo
	v_cndmask_b32_e64 v0, v2, v0, s0
	v_cndmask_b32_e64 v1, v3, v1, s0
	v_xor_b32_e32 v0, v0, v5
	v_xor_b32_e32 v1, v1, v5
	v_sub_co_u32 v8, vcc_lo, v0, v5
	v_sub_co_ci_u32_e64 v9, null, v1, v5, vcc_lo
.LBB2_6:                                ;   in Loop: Header=BB2_4 Depth=1
	s_andn2_saveexec_b32 s0, s1
	s_cbranch_execz .LBB2_8
; %bb.7:                                ;   in Loop: Header=BB2_4 Depth=1
	s_sub_i32 s1, 0, s8
	v_mov_b32_e32 v9, v4
	v_mul_lo_u32 v0, s1, v38
	v_mul_hi_u32 v0, v38, v0
	v_add_nc_u32_e32 v0, v38, v0
	v_mul_hi_u32 v0, v6, v0
	v_mul_lo_u32 v1, v0, s8
	v_add_nc_u32_e32 v2, 1, v0
	v_sub_nc_u32_e32 v1, v6, v1
	v_subrev_nc_u32_e32 v3, s8, v1
	v_cmp_le_u32_e32 vcc_lo, s8, v1
	v_cndmask_b32_e32 v1, v1, v3, vcc_lo
	v_cndmask_b32_e32 v0, v0, v2, vcc_lo
	v_cmp_le_u32_e32 vcc_lo, s8, v1
	v_add_nc_u32_e32 v2, 1, v0
	v_cndmask_b32_e32 v8, v0, v2, vcc_lo
.LBB2_8:                                ;   in Loop: Header=BB2_4 Depth=1
	s_or_b32 exec_lo, exec_lo, s0
	v_mul_lo_u32 v0, v9, s8
	v_mul_lo_u32 v1, v8, s9
	v_mad_u64_u32 v[12:13], null, v8, s8, 0
                                        ; implicit-def: $vgpr2_vgpr3
	s_mov_b32 s0, exec_lo
	v_add3_u32 v13, v13, v1, v0
	v_sub_co_u32 v10, vcc_lo, v6, v12
	v_sub_co_ci_u32_e64 v11, null, v7, v13, vcc_lo
	v_or_b32_e32 v5, s19, v11
	v_ashrrev_i32_e32 v14, 31, v11
	v_cmpx_ne_u64_e32 0, v[4:5]
	s_xor_b32 s1, exec_lo, s0
	s_cbranch_execz .LBB2_10
; %bb.9:                                ;   in Loop: Header=BB2_4 Depth=1
	s_ashr_i32 s2, s19, 31
	v_add_co_u32 v2, vcc_lo, v10, v14
	s_add_u32 s54, s18, s2
	s_mov_b32 s3, s2
	s_addc_u32 s55, s19, s2
	v_add_co_ci_u32_e64 v3, null, v11, v14, vcc_lo
	s_xor_b64 s[54:55], s[54:55], s[2:3]
	v_xor_b32_e32 v5, v2, v14
	v_cvt_f32_u32_e32 v0, s54
	v_cvt_f32_u32_e32 v1, s55
	s_sub_u32 s53, 0, s54
	s_subb_u32 s56, 0, s55
	v_xor_b32_e32 v17, v3, v14
	v_fmac_f32_e32 v0, 0x4f800000, v1
	v_rcp_f32_e32 v0, v0
	v_mul_f32_e32 v0, 0x5f7ffffc, v0
	v_mul_f32_e32 v1, 0x2f800000, v0
	v_trunc_f32_e32 v1, v1
	v_fmac_f32_e32 v0, 0xcf800000, v1
	v_cvt_u32_f32_e32 v1, v1
	v_cvt_u32_f32_e32 v0, v0
	v_readfirstlane_b32 s0, v1
	v_readfirstlane_b32 s3, v0
	s_mul_i32 s57, s53, s0
	s_mul_hi_u32 s62, s53, s3
	s_mul_i32 s61, s56, s3
	s_add_i32 s57, s62, s57
	s_mul_i32 s63, s53, s3
	s_add_i32 s57, s57, s61
	s_mul_hi_u32 s62, s3, s63
	s_mul_i32 s65, s3, s57
	s_mul_hi_u32 s64, s0, s63
	s_mul_i32 s61, s0, s63
	s_mul_hi_u32 s63, s3, s57
	s_add_u32 s62, s62, s65
	s_addc_u32 s63, 0, s63
	s_mul_hi_u32 s66, s0, s57
	s_add_u32 s61, s62, s61
	s_mul_i32 s57, s0, s57
	s_addc_u32 s61, s63, s64
	s_addc_u32 s62, s66, 0
	s_add_u32 s57, s61, s57
	s_addc_u32 s61, 0, s62
	s_add_u32 s3, s3, s57
	s_cselect_b32 s57, -1, 0
	s_mul_hi_u32 s62, s53, s3
	s_cmp_lg_u32 s57, 0
	s_mul_i32 s57, s53, s3
	s_addc_u32 s0, s0, s61
	s_mul_i32 s56, s56, s3
	s_mul_i32 s53, s53, s0
	s_mul_hi_u32 s61, s3, s57
	s_add_i32 s53, s62, s53
	s_mul_hi_u32 s62, s0, s57
	s_add_i32 s53, s53, s56
	s_mul_i32 s56, s0, s57
	s_mul_i32 s64, s3, s53
	s_mul_hi_u32 s63, s3, s53
	s_add_u32 s61, s61, s64
	s_addc_u32 s63, 0, s63
	s_mul_hi_u32 s57, s0, s53
	s_add_u32 s56, s61, s56
	s_mul_i32 s53, s0, s53
	s_addc_u32 s56, s63, s62
	s_addc_u32 s57, s57, 0
	s_add_u32 s53, s56, s53
	s_addc_u32 s56, 0, s57
	s_add_u32 s3, s3, s53
	s_cselect_b32 s53, -1, 0
	v_mul_hi_u32 v18, v5, s3
	s_cmp_lg_u32 s53, 0
	v_mad_u64_u32 v[2:3], null, v17, s3, 0
	s_addc_u32 s0, s0, s56
	v_mad_u64_u32 v[0:1], null, v5, s0, 0
	v_mad_u64_u32 v[15:16], null, v17, s0, 0
	v_add_co_u32 v0, vcc_lo, v18, v0
	v_add_co_ci_u32_e64 v1, null, 0, v1, vcc_lo
	v_add_co_u32 v0, vcc_lo, v0, v2
	v_add_co_ci_u32_e32 v0, vcc_lo, v1, v3, vcc_lo
	v_add_co_ci_u32_e32 v1, vcc_lo, 0, v16, vcc_lo
	v_add_co_u32 v2, vcc_lo, v0, v15
	v_add_co_ci_u32_e64 v3, null, 0, v1, vcc_lo
	v_mul_lo_u32 v15, s55, v2
	v_mad_u64_u32 v[0:1], null, s54, v2, 0
	v_mul_lo_u32 v16, s54, v3
	v_sub_co_u32 v0, vcc_lo, v5, v0
	v_add3_u32 v1, v1, v16, v15
	v_sub_nc_u32_e32 v15, v17, v1
	v_sub_co_ci_u32_e64 v1, null, v17, v1, vcc_lo
	v_subrev_co_ci_u32_e64 v5, null, s55, v15, vcc_lo
	v_add_co_u32 v15, s0, v2, 2
	v_add_co_ci_u32_e64 v16, null, 0, v3, s0
	v_sub_co_u32 v18, s0, v0, s54
	v_subrev_co_ci_u32_e64 v5, null, 0, v5, s0
	v_cmp_le_u32_e32 vcc_lo, s54, v18
	v_cndmask_b32_e64 v17, 0, -1, vcc_lo
	v_cmp_le_u32_e32 vcc_lo, s55, v5
	v_cndmask_b32_e64 v18, 0, -1, vcc_lo
	;; [unrolled: 2-line block ×4, first 2 shown]
	v_cmp_eq_u32_e32 vcc_lo, s55, v5
	v_cndmask_b32_e32 v5, v18, v17, vcc_lo
	v_add_co_u32 v17, vcc_lo, v2, 1
	v_add_co_ci_u32_e64 v18, null, 0, v3, vcc_lo
	v_cmp_eq_u32_e32 vcc_lo, s55, v1
	v_cndmask_b32_e32 v0, v19, v0, vcc_lo
	v_cmp_ne_u32_e32 vcc_lo, 0, v5
	v_xor_b32_e32 v5, s2, v14
	v_cmp_ne_u32_e64 s0, 0, v0
	v_cndmask_b32_e32 v0, v17, v15, vcc_lo
	v_cndmask_b32_e32 v1, v18, v16, vcc_lo
	v_cndmask_b32_e64 v0, v2, v0, s0
	v_cndmask_b32_e64 v1, v3, v1, s0
	v_xor_b32_e32 v0, v0, v5
	v_xor_b32_e32 v1, v1, v5
	v_sub_co_u32 v2, vcc_lo, v0, v5
	v_sub_co_ci_u32_e64 v3, null, v1, v5, vcc_lo
.LBB2_10:                               ;   in Loop: Header=BB2_4 Depth=1
	s_andn2_saveexec_b32 s0, s1
	s_cbranch_execz .LBB2_12
; %bb.11:                               ;   in Loop: Header=BB2_4 Depth=1
	v_cvt_f32_u32_e32 v0, s18
	s_sub_i32 s1, 0, s18
	v_rcp_iflag_f32_e32 v0, v0
	v_mul_f32_e32 v0, 0x4f7ffffe, v0
	v_cvt_u32_f32_e32 v0, v0
	v_mul_lo_u32 v1, s1, v0
	v_mul_hi_u32 v1, v0, v1
	v_add_nc_u32_e32 v0, v0, v1
	v_mul_hi_u32 v0, v10, v0
	v_mul_lo_u32 v1, v0, s18
	v_add_nc_u32_e32 v2, 1, v0
	v_sub_nc_u32_e32 v1, v10, v1
	v_subrev_nc_u32_e32 v3, s18, v1
	v_cmp_le_u32_e32 vcc_lo, s18, v1
	v_cndmask_b32_e32 v1, v1, v3, vcc_lo
	v_cndmask_b32_e32 v0, v0, v2, vcc_lo
	v_mov_b32_e32 v3, v4
	v_cmp_le_u32_e32 vcc_lo, s18, v1
	v_add_nc_u32_e32 v2, 1, v0
	v_cndmask_b32_e32 v2, v0, v2, vcc_lo
.LBB2_12:                               ;   in Loop: Header=BB2_4 Depth=1
	s_or_b32 exec_lo, exec_lo, s0
	v_or_b32_e32 v5, s17, v3
                                        ; implicit-def: $vgpr0_vgpr1
	s_mov_b32 s0, exec_lo
	v_cmpx_ne_u64_e32 0, v[4:5]
	s_xor_b32 s1, exec_lo, s0
	s_cbranch_execz .LBB2_14
; %bb.13:                               ;   in Loop: Header=BB2_4 Depth=1
	s_ashr_i32 s2, s17, 31
	v_ashrrev_i32_e32 v5, 31, v3
	s_add_u32 s54, s16, s2
	s_mov_b32 s3, s2
	s_addc_u32 s55, s17, s2
	s_xor_b64 s[2:3], s[54:55], s[2:3]
	v_add_co_u32 v15, vcc_lo, v2, v5
	v_cvt_f32_u32_e32 v0, s2
	v_cvt_f32_u32_e32 v1, s3
	s_sub_u32 s54, 0, s2
	s_subb_u32 s55, 0, s3
	v_add_co_ci_u32_e64 v16, null, v3, v5, vcc_lo
	v_fmac_f32_e32 v0, 0x4f800000, v1
	v_xor_b32_e32 v19, v15, v5
	v_xor_b32_e32 v20, v16, v5
	v_rcp_f32_e32 v0, v0
	v_mul_f32_e32 v0, 0x5f7ffffc, v0
	v_mul_f32_e32 v1, 0x2f800000, v0
	v_trunc_f32_e32 v1, v1
	v_fmac_f32_e32 v0, 0xcf800000, v1
	v_cvt_u32_f32_e32 v1, v1
	v_cvt_u32_f32_e32 v0, v0
	v_readfirstlane_b32 s0, v1
	v_readfirstlane_b32 s53, v0
	s_mul_i32 s56, s54, s0
	s_mul_hi_u32 s61, s54, s53
	s_mul_i32 s57, s55, s53
	s_add_i32 s56, s61, s56
	s_mul_i32 s62, s54, s53
	s_add_i32 s56, s56, s57
	s_mul_hi_u32 s61, s53, s62
	s_mul_i32 s64, s53, s56
	s_mul_hi_u32 s63, s0, s62
	s_mul_i32 s57, s0, s62
	s_mul_hi_u32 s62, s53, s56
	s_add_u32 s61, s61, s64
	s_addc_u32 s62, 0, s62
	s_mul_hi_u32 s65, s0, s56
	s_add_u32 s57, s61, s57
	s_mul_i32 s56, s0, s56
	s_addc_u32 s57, s62, s63
	s_addc_u32 s61, s65, 0
	s_add_u32 s56, s57, s56
	s_addc_u32 s57, 0, s61
	s_add_u32 s53, s53, s56
	s_cselect_b32 s56, -1, 0
	s_mul_hi_u32 s61, s54, s53
	s_cmp_lg_u32 s56, 0
	s_mul_i32 s56, s54, s53
	s_addc_u32 s0, s0, s57
	s_mul_i32 s55, s55, s53
	s_mul_i32 s54, s54, s0
	s_mul_hi_u32 s57, s53, s56
	s_add_i32 s54, s61, s54
	s_mul_hi_u32 s61, s0, s56
	s_add_i32 s54, s54, s55
	s_mul_i32 s55, s0, s56
	s_mul_i32 s63, s53, s54
	s_mul_hi_u32 s62, s53, s54
	s_add_u32 s57, s57, s63
	s_addc_u32 s62, 0, s62
	s_mul_hi_u32 s56, s0, s54
	s_add_u32 s55, s57, s55
	s_mul_i32 s54, s0, s54
	s_addc_u32 s55, s62, s61
	s_addc_u32 s56, s56, 0
	s_add_u32 s54, s55, s54
	s_addc_u32 s55, 0, s56
	s_add_u32 s53, s53, s54
	s_cselect_b32 s54, -1, 0
	v_mul_hi_u32 v21, v19, s53
	s_cmp_lg_u32 s54, 0
	v_mad_u64_u32 v[15:16], null, v20, s53, 0
	s_addc_u32 s0, s0, s55
	v_mad_u64_u32 v[0:1], null, v19, s0, 0
	v_mad_u64_u32 v[17:18], null, v20, s0, 0
	v_add_co_u32 v0, vcc_lo, v21, v0
	v_add_co_ci_u32_e64 v1, null, 0, v1, vcc_lo
	v_add_co_u32 v0, vcc_lo, v0, v15
	v_add_co_ci_u32_e32 v0, vcc_lo, v1, v16, vcc_lo
	v_add_co_ci_u32_e32 v1, vcc_lo, 0, v18, vcc_lo
	v_add_co_u32 v0, vcc_lo, v0, v17
	v_add_co_ci_u32_e64 v15, null, 0, v1, vcc_lo
	v_mul_lo_u32 v16, s3, v0
	v_mad_u64_u32 v[0:1], null, s2, v0, 0
	v_mul_lo_u32 v15, s2, v15
	v_sub_co_u32 v0, vcc_lo, v19, v0
	v_add3_u32 v1, v1, v15, v16
	v_cmp_le_u32_e64 s0, s2, v0
	v_sub_nc_u32_e32 v15, v20, v1
	v_sub_co_ci_u32_e64 v1, null, v20, v1, vcc_lo
	v_cndmask_b32_e64 v18, 0, -1, s0
	v_subrev_co_ci_u32_e64 v15, null, s3, v15, vcc_lo
	v_sub_co_u32 v16, vcc_lo, v0, s2
	v_subrev_co_ci_u32_e64 v17, null, 0, v15, vcc_lo
	v_cmp_le_u32_e64 s0, s2, v16
	v_subrev_co_ci_u32_e64 v15, null, s3, v15, vcc_lo
	v_cmp_le_u32_e32 vcc_lo, s3, v1
	v_cndmask_b32_e64 v19, 0, -1, s0
	v_cmp_le_u32_e64 s0, s3, v17
	v_cndmask_b32_e64 v21, 0, -1, vcc_lo
	v_cmp_eq_u32_e32 vcc_lo, s3, v17
	v_cndmask_b32_e64 v20, 0, -1, s0
	v_cmp_eq_u32_e64 s0, s3, v1
	v_cndmask_b32_e32 v19, v20, v19, vcc_lo
	v_sub_co_u32 v20, vcc_lo, v16, s2
	v_subrev_co_ci_u32_e64 v15, null, 0, v15, vcc_lo
	v_cmp_ne_u32_e32 vcc_lo, 0, v19
	v_cndmask_b32_e64 v18, v21, v18, s0
	v_cndmask_b32_e32 v15, v17, v15, vcc_lo
	v_cndmask_b32_e32 v16, v16, v20, vcc_lo
	v_cmp_ne_u32_e32 vcc_lo, 0, v18
	v_cndmask_b32_e32 v0, v0, v16, vcc_lo
	v_cndmask_b32_e32 v1, v1, v15, vcc_lo
	v_xor_b32_e32 v0, v0, v5
	v_xor_b32_e32 v1, v1, v5
	v_sub_co_u32 v0, vcc_lo, v0, v5
	v_sub_co_ci_u32_e64 v1, null, v1, v5, vcc_lo
.LBB2_14:                               ;   in Loop: Header=BB2_4 Depth=1
	s_andn2_saveexec_b32 s0, s1
	s_cbranch_execz .LBB2_16
; %bb.15:                               ;   in Loop: Header=BB2_4 Depth=1
	v_cvt_f32_u32_e32 v0, s16
	s_sub_i32 s1, 0, s16
	v_rcp_iflag_f32_e32 v0, v0
	v_mul_f32_e32 v0, 0x4f7ffffe, v0
	v_cvt_u32_f32_e32 v0, v0
	v_mul_lo_u32 v1, s1, v0
	v_mul_hi_u32 v1, v0, v1
	v_add_nc_u32_e32 v0, v0, v1
	v_mul_hi_u32 v0, v2, v0
	v_mul_lo_u32 v0, v0, s16
	v_sub_nc_u32_e32 v0, v2, v0
	v_subrev_nc_u32_e32 v1, s16, v0
	v_cmp_le_u32_e32 vcc_lo, s16, v0
	v_cndmask_b32_e32 v0, v0, v1, vcc_lo
	v_subrev_nc_u32_e32 v1, s16, v0
	v_cmp_le_u32_e32 vcc_lo, s16, v0
	v_cndmask_b32_e32 v0, v0, v1, vcc_lo
	v_mov_b32_e32 v1, v4
.LBB2_16:                               ;   in Loop: Header=BB2_4 Depth=1
	s_or_b32 exec_lo, exec_lo, s0
	v_or_b32_e32 v5, s59, v11
                                        ; implicit-def: $vgpr18_vgpr19
	s_mov_b32 s0, exec_lo
	v_cmpx_ne_u64_e32 0, v[4:5]
	s_xor_b32 s1, exec_lo, s0
	s_cbranch_execz .LBB2_18
; %bb.17:                               ;   in Loop: Header=BB2_4 Depth=1
	s_ashr_i32 s2, s59, 31
	v_add_co_u32 v16, vcc_lo, v10, v14
	s_add_u32 s54, s33, s2
	s_mov_b32 s3, s2
	s_addc_u32 s55, s59, s2
	v_add_co_ci_u32_e64 v17, null, v11, v14, vcc_lo
	s_xor_b64 s[54:55], s[54:55], s[2:3]
	v_cvt_f32_u32_e32 v5, s54
	v_cvt_f32_u32_e32 v15, s55
	s_sub_u32 s53, 0, s54
	s_subb_u32 s56, 0, s55
	v_xor_b32_e32 v21, v17, v14
	v_fmac_f32_e32 v5, 0x4f800000, v15
	v_rcp_f32_e32 v5, v5
	v_mul_f32_e32 v5, 0x5f7ffffc, v5
	v_mul_f32_e32 v15, 0x2f800000, v5
	v_trunc_f32_e32 v15, v15
	v_fmac_f32_e32 v5, 0xcf800000, v15
	v_cvt_u32_f32_e32 v15, v15
	v_cvt_u32_f32_e32 v5, v5
	v_readfirstlane_b32 s0, v15
	v_readfirstlane_b32 s3, v5
	s_mul_i32 s57, s53, s0
	v_xor_b32_e32 v5, v16, v14
	v_xor_b32_e32 v14, s2, v14
	s_mul_hi_u32 s62, s53, s3
	s_mul_i32 s61, s56, s3
	s_add_i32 s57, s62, s57
	s_mul_i32 s63, s53, s3
	s_add_i32 s57, s57, s61
	s_mul_hi_u32 s62, s3, s63
	s_mul_i32 s65, s3, s57
	s_mul_hi_u32 s64, s0, s63
	s_mul_i32 s61, s0, s63
	s_mul_hi_u32 s63, s3, s57
	s_add_u32 s62, s62, s65
	s_addc_u32 s63, 0, s63
	s_mul_hi_u32 s66, s0, s57
	s_add_u32 s61, s62, s61
	s_mul_i32 s57, s0, s57
	s_addc_u32 s61, s63, s64
	s_addc_u32 s62, s66, 0
	s_add_u32 s57, s61, s57
	s_addc_u32 s61, 0, s62
	s_add_u32 s3, s3, s57
	s_cselect_b32 s57, -1, 0
	s_mul_hi_u32 s62, s53, s3
	s_cmp_lg_u32 s57, 0
	s_mul_i32 s57, s53, s3
	s_addc_u32 s0, s0, s61
	s_mul_i32 s56, s56, s3
	s_mul_i32 s53, s53, s0
	s_mul_hi_u32 s61, s3, s57
	s_add_i32 s53, s62, s53
	s_mul_hi_u32 s62, s0, s57
	s_add_i32 s53, s53, s56
	s_mul_i32 s56, s0, s57
	s_mul_i32 s64, s3, s53
	s_mul_hi_u32 s63, s3, s53
	s_add_u32 s61, s61, s64
	s_addc_u32 s63, 0, s63
	s_mul_hi_u32 s57, s0, s53
	s_add_u32 s56, s61, s56
	s_mul_i32 s53, s0, s53
	s_addc_u32 s56, s63, s62
	s_addc_u32 s57, s57, 0
	s_add_u32 s53, s56, s53
	s_addc_u32 s56, 0, s57
	s_add_u32 s3, s3, s53
	s_cselect_b32 s53, -1, 0
	v_mul_hi_u32 v22, v5, s3
	s_cmp_lg_u32 s53, 0
	v_mad_u64_u32 v[17:18], null, v21, s3, 0
	s_addc_u32 s0, s0, s56
	v_mad_u64_u32 v[15:16], null, v5, s0, 0
	v_mad_u64_u32 v[19:20], null, v21, s0, 0
	v_add_co_u32 v15, vcc_lo, v22, v15
	v_add_co_ci_u32_e64 v16, null, 0, v16, vcc_lo
	v_add_co_u32 v15, vcc_lo, v15, v17
	v_add_co_ci_u32_e32 v15, vcc_lo, v16, v18, vcc_lo
	v_add_co_ci_u32_e32 v16, vcc_lo, 0, v20, vcc_lo
	v_add_co_u32 v17, vcc_lo, v15, v19
	v_add_co_ci_u32_e64 v18, null, 0, v16, vcc_lo
	v_mul_lo_u32 v19, s55, v17
	v_mad_u64_u32 v[15:16], null, s54, v17, 0
	v_mul_lo_u32 v20, s54, v18
	v_sub_co_u32 v5, vcc_lo, v5, v15
	v_add3_u32 v16, v16, v20, v19
	v_sub_nc_u32_e32 v19, v21, v16
	v_sub_co_ci_u32_e64 v16, null, v21, v16, vcc_lo
	v_subrev_co_ci_u32_e64 v15, null, s55, v19, vcc_lo
	v_add_co_u32 v19, s0, v17, 2
	v_add_co_ci_u32_e64 v20, null, 0, v18, s0
	v_sub_co_u32 v22, s0, v5, s54
	v_subrev_co_ci_u32_e64 v15, null, 0, v15, s0
	v_cmp_le_u32_e32 vcc_lo, s54, v22
	v_cndmask_b32_e64 v21, 0, -1, vcc_lo
	v_cmp_le_u32_e32 vcc_lo, s55, v15
	v_cndmask_b32_e64 v22, 0, -1, vcc_lo
	;; [unrolled: 2-line block ×4, first 2 shown]
	v_cmp_eq_u32_e32 vcc_lo, s55, v15
	v_cndmask_b32_e32 v15, v22, v21, vcc_lo
	v_add_co_u32 v21, vcc_lo, v17, 1
	v_add_co_ci_u32_e64 v22, null, 0, v18, vcc_lo
	v_cmp_eq_u32_e32 vcc_lo, s55, v16
	v_cndmask_b32_e32 v5, v23, v5, vcc_lo
	v_cmp_ne_u32_e32 vcc_lo, 0, v15
	v_cmp_ne_u32_e64 s0, 0, v5
	v_cndmask_b32_e32 v5, v21, v19, vcc_lo
	v_cndmask_b32_e32 v15, v22, v20, vcc_lo
	v_cndmask_b32_e64 v5, v17, v5, s0
	v_cndmask_b32_e64 v15, v18, v15, s0
	v_xor_b32_e32 v5, v5, v14
	v_xor_b32_e32 v15, v15, v14
	v_sub_co_u32 v18, vcc_lo, v5, v14
	v_sub_co_ci_u32_e64 v19, null, v15, v14, vcc_lo
.LBB2_18:                               ;   in Loop: Header=BB2_4 Depth=1
	s_andn2_saveexec_b32 s0, s1
	s_cbranch_execz .LBB2_20
; %bb.19:                               ;   in Loop: Header=BB2_4 Depth=1
	v_cvt_f32_u32_e32 v5, s33
	s_sub_i32 s1, 0, s33
	v_mov_b32_e32 v19, v4
	v_rcp_iflag_f32_e32 v5, v5
	v_mul_f32_e32 v5, 0x4f7ffffe, v5
	v_cvt_u32_f32_e32 v5, v5
	v_mul_lo_u32 v14, s1, v5
	v_mul_hi_u32 v14, v5, v14
	v_add_nc_u32_e32 v5, v5, v14
	v_mul_hi_u32 v5, v10, v5
	v_mul_lo_u32 v14, v5, s33
	v_add_nc_u32_e32 v15, 1, v5
	v_sub_nc_u32_e32 v14, v10, v14
	v_subrev_nc_u32_e32 v16, s33, v14
	v_cmp_le_u32_e32 vcc_lo, s33, v14
	v_cndmask_b32_e32 v14, v14, v16, vcc_lo
	v_cndmask_b32_e32 v5, v5, v15, vcc_lo
	v_cmp_le_u32_e32 vcc_lo, s33, v14
	v_add_nc_u32_e32 v15, 1, v5
	v_cndmask_b32_e32 v18, v5, v15, vcc_lo
.LBB2_20:                               ;   in Loop: Header=BB2_4 Depth=1
	s_or_b32 exec_lo, exec_lo, s0
	v_mul_lo_u32 v3, v3, s18
	v_mul_lo_u32 v5, v2, s19
	v_mad_u64_u32 v[20:21], null, v2, s18, 0
	v_mov_b32_e32 v14, 0
	v_mov_b32_e32 v15, 0
	s_mov_b32 s1, exec_lo
	v_add3_u32 v21, v21, v5, v3
	v_sub_co_u32 v2, vcc_lo, v10, v20
	v_sub_co_ci_u32_e64 v3, null, v11, v21, vcc_lo
	v_add_co_u32 v2, vcc_lo, v2, s38
	v_add_co_ci_u32_e64 v3, null, s39, v3, vcc_lo
	v_cmpx_lt_i64_e64 s[24:25], v[2:3]
	s_cbranch_execz .LBB2_26
; %bb.21:                               ;   in Loop: Header=BB2_4 Depth=1
	v_add_co_u32 v16, vcc_lo, v2, s26
	v_add_co_ci_u32_e64 v17, null, s27, v3, vcc_lo
                                        ; implicit-def: $vgpr14_vgpr15
	s_mov_b32 s0, exec_lo
	v_or_b32_e32 v5, s43, v17
	v_cmpx_ne_u64_e32 0, v[4:5]
	s_xor_b32 s53, exec_lo, s0
	s_cbranch_execz .LBB2_23
; %bb.22:                               ;   in Loop: Header=BB2_4 Depth=1
	s_ashr_i32 s2, s43, 31
	v_ashrrev_i32_e32 v24, 31, v17
	s_add_u32 s54, s42, s2
	s_mov_b32 s3, s2
	s_addc_u32 s55, s43, s2
	s_xor_b64 s[54:55], s[54:55], s[2:3]
	v_add_co_u32 v15, vcc_lo, v16, v24
	v_cvt_f32_u32_e32 v5, s54
	v_cvt_f32_u32_e32 v14, s55
	s_sub_u32 s56, 0, s54
	s_subb_u32 s57, 0, s55
	v_add_co_ci_u32_e64 v16, null, v17, v24, vcc_lo
	v_fmac_f32_e32 v5, 0x4f800000, v14
	v_xor_b32_e32 v25, v16, v24
	v_rcp_f32_e32 v5, v5
	v_mul_f32_e32 v5, 0x5f7ffffc, v5
	v_mul_f32_e32 v14, 0x2f800000, v5
	v_trunc_f32_e32 v14, v14
	v_fmac_f32_e32 v5, 0xcf800000, v14
	v_cvt_u32_f32_e32 v14, v14
	v_cvt_u32_f32_e32 v5, v5
	v_readfirstlane_b32 s0, v14
	v_readfirstlane_b32 s3, v5
	s_mul_i32 s61, s56, s0
	v_xor_b32_e32 v5, v15, v24
	s_mul_hi_u32 s63, s56, s3
	s_mul_i32 s62, s57, s3
	s_add_i32 s61, s63, s61
	s_mul_i32 s64, s56, s3
	s_add_i32 s61, s61, s62
	s_mul_hi_u32 s63, s3, s64
	s_mul_i32 s66, s3, s61
	s_mul_hi_u32 s65, s0, s64
	s_mul_i32 s62, s0, s64
	s_mul_hi_u32 s64, s3, s61
	s_add_u32 s63, s63, s66
	s_addc_u32 s64, 0, s64
	s_mul_hi_u32 s67, s0, s61
	s_add_u32 s62, s63, s62
	s_mul_i32 s61, s0, s61
	s_addc_u32 s62, s64, s65
	s_addc_u32 s63, s67, 0
	s_add_u32 s61, s62, s61
	s_addc_u32 s62, 0, s63
	s_add_u32 s3, s3, s61
	s_cselect_b32 s61, -1, 0
	s_mul_hi_u32 s63, s56, s3
	s_cmp_lg_u32 s61, 0
	s_mul_i32 s61, s56, s3
	s_addc_u32 s0, s0, s62
	s_mul_i32 s57, s57, s3
	s_mul_i32 s56, s56, s0
	s_mul_hi_u32 s62, s3, s61
	s_add_i32 s56, s63, s56
	s_mul_hi_u32 s63, s0, s61
	s_add_i32 s56, s56, s57
	s_mul_i32 s57, s0, s61
	s_mul_i32 s65, s3, s56
	s_mul_hi_u32 s64, s3, s56
	s_add_u32 s62, s62, s65
	s_addc_u32 s64, 0, s64
	s_mul_hi_u32 s61, s0, s56
	s_add_u32 s57, s62, s57
	s_mul_i32 s56, s0, s56
	s_addc_u32 s57, s64, s63
	s_addc_u32 s61, s61, 0
	s_add_u32 s56, s57, s56
	s_addc_u32 s57, 0, s61
	s_add_u32 s3, s3, s56
	s_cselect_b32 s56, -1, 0
	v_mul_hi_u32 v26, v5, s3
	s_cmp_lg_u32 s56, 0
	v_mad_u64_u32 v[16:17], null, v25, s3, 0
	s_addc_u32 s0, s0, s57
	v_mad_u64_u32 v[14:15], null, v5, s0, 0
	v_mad_u64_u32 v[22:23], null, v25, s0, 0
	v_add_co_u32 v14, vcc_lo, v26, v14
	v_add_co_ci_u32_e64 v15, null, 0, v15, vcc_lo
	v_add_co_u32 v14, vcc_lo, v14, v16
	v_add_co_ci_u32_e32 v14, vcc_lo, v15, v17, vcc_lo
	v_add_co_ci_u32_e32 v15, vcc_lo, 0, v23, vcc_lo
	v_add_co_u32 v16, vcc_lo, v14, v22
	v_add_co_ci_u32_e64 v17, null, 0, v15, vcc_lo
	v_mul_lo_u32 v22, s55, v16
	v_mad_u64_u32 v[14:15], null, s54, v16, 0
	v_mul_lo_u32 v23, s54, v17
	v_sub_co_u32 v5, vcc_lo, v5, v14
	v_add3_u32 v15, v15, v23, v22
	v_sub_nc_u32_e32 v22, v25, v15
	v_sub_co_ci_u32_e64 v15, null, v25, v15, vcc_lo
	v_subrev_co_ci_u32_e64 v14, null, s55, v22, vcc_lo
	v_add_co_u32 v22, s0, v16, 2
	v_add_co_ci_u32_e64 v23, null, 0, v17, s0
	v_sub_co_u32 v26, s0, v5, s54
	v_subrev_co_ci_u32_e64 v14, null, 0, v14, s0
	v_cmp_le_u32_e32 vcc_lo, s54, v26
	v_cndmask_b32_e64 v25, 0, -1, vcc_lo
	v_cmp_le_u32_e32 vcc_lo, s55, v14
	v_cndmask_b32_e64 v26, 0, -1, vcc_lo
	;; [unrolled: 2-line block ×4, first 2 shown]
	v_cmp_eq_u32_e32 vcc_lo, s55, v14
	v_cndmask_b32_e32 v14, v26, v25, vcc_lo
	v_add_co_u32 v25, vcc_lo, v16, 1
	v_add_co_ci_u32_e64 v26, null, 0, v17, vcc_lo
	v_cmp_eq_u32_e32 vcc_lo, s55, v15
	v_xor_b32_e32 v15, s2, v24
	v_cndmask_b32_e32 v5, v27, v5, vcc_lo
	v_cmp_ne_u32_e32 vcc_lo, 0, v14
	v_cmp_ne_u32_e64 s0, 0, v5
	v_cndmask_b32_e32 v5, v25, v22, vcc_lo
	v_cndmask_b32_e32 v14, v26, v23, vcc_lo
	v_cndmask_b32_e64 v5, v16, v5, s0
	v_cndmask_b32_e64 v14, v17, v14, s0
	v_xor_b32_e32 v5, v5, v15
	v_xor_b32_e32 v16, v14, v15
	v_sub_co_u32 v14, vcc_lo, v5, v15
	v_sub_co_ci_u32_e64 v15, null, v16, v15, vcc_lo
                                        ; implicit-def: $vgpr16
.LBB2_23:                               ;   in Loop: Header=BB2_4 Depth=1
	s_andn2_saveexec_b32 s0, s53
	s_cbranch_execz .LBB2_25
; %bb.24:                               ;   in Loop: Header=BB2_4 Depth=1
	v_cvt_f32_u32_e32 v5, s42
	s_sub_i32 s2, 0, s42
	v_rcp_iflag_f32_e32 v5, v5
	v_mul_f32_e32 v5, 0x4f7ffffe, v5
	v_cvt_u32_f32_e32 v5, v5
	v_mul_lo_u32 v14, s2, v5
	v_mul_hi_u32 v14, v5, v14
	v_add_nc_u32_e32 v5, v5, v14
	v_mul_hi_u32 v5, v16, v5
	v_mul_lo_u32 v14, v5, s42
	v_add_nc_u32_e32 v15, 1, v5
	v_sub_nc_u32_e32 v14, v16, v14
	v_subrev_nc_u32_e32 v16, s42, v14
	v_cmp_le_u32_e32 vcc_lo, s42, v14
	v_cndmask_b32_e32 v14, v14, v16, vcc_lo
	v_cndmask_b32_e32 v5, v5, v15, vcc_lo
	v_cmp_le_u32_e32 vcc_lo, s42, v14
	v_add_nc_u32_e32 v15, 1, v5
	v_cndmask_b32_e32 v14, v5, v15, vcc_lo
	v_mov_b32_e32 v15, v4
.LBB2_25:                               ;   in Loop: Header=BB2_4 Depth=1
	s_or_b32 exec_lo, exec_lo, s0
	v_add_co_u32 v14, vcc_lo, v14, 1
	v_add_co_ci_u32_e64 v15, null, 0, v15, vcc_lo
.LBB2_26:                               ;   in Loop: Header=BB2_4 Depth=1
	s_or_b32 exec_lo, exec_lo, s1
	v_or_b32_e32 v5, s43, v3
                                        ; implicit-def: $vgpr26_vgpr27
	s_mov_b32 s0, exec_lo
	v_cmpx_ne_u64_e32 0, v[4:5]
	s_xor_b32 s1, exec_lo, s0
	s_cbranch_execz .LBB2_28
; %bb.27:                               ;   in Loop: Header=BB2_4 Depth=1
	s_ashr_i32 s2, s43, 31
	v_ashrrev_i32_e32 v24, 31, v3
	s_add_u32 s54, s42, s2
	s_mov_b32 s3, s2
	s_addc_u32 s55, s43, s2
	s_xor_b64 s[54:55], s[54:55], s[2:3]
	v_add_co_u32 v2, vcc_lo, v2, v24
	v_cvt_f32_u32_e32 v5, s54
	v_cvt_f32_u32_e32 v16, s55
	s_sub_u32 s53, 0, s54
	s_subb_u32 s56, 0, s55
	v_add_co_ci_u32_e64 v3, null, v3, v24, vcc_lo
	v_fmac_f32_e32 v5, 0x4f800000, v16
	v_xor_b32_e32 v25, v3, v24
	v_rcp_f32_e32 v5, v5
	v_mul_f32_e32 v5, 0x5f7ffffc, v5
	v_mul_f32_e32 v16, 0x2f800000, v5
	v_trunc_f32_e32 v16, v16
	v_fmac_f32_e32 v5, 0xcf800000, v16
	v_cvt_u32_f32_e32 v16, v16
	v_cvt_u32_f32_e32 v5, v5
	v_readfirstlane_b32 s0, v16
	v_readfirstlane_b32 s3, v5
	s_mul_i32 s57, s53, s0
	v_xor_b32_e32 v5, v2, v24
	s_mul_hi_u32 s62, s53, s3
	s_mul_i32 s61, s56, s3
	s_add_i32 s57, s62, s57
	s_mul_i32 s63, s53, s3
	s_add_i32 s57, s57, s61
	s_mul_hi_u32 s62, s3, s63
	s_mul_i32 s65, s3, s57
	s_mul_hi_u32 s64, s0, s63
	s_mul_i32 s61, s0, s63
	s_mul_hi_u32 s63, s3, s57
	s_add_u32 s62, s62, s65
	s_addc_u32 s63, 0, s63
	s_mul_hi_u32 s66, s0, s57
	s_add_u32 s61, s62, s61
	s_mul_i32 s57, s0, s57
	s_addc_u32 s61, s63, s64
	s_addc_u32 s62, s66, 0
	s_add_u32 s57, s61, s57
	s_addc_u32 s61, 0, s62
	s_add_u32 s3, s3, s57
	s_cselect_b32 s57, -1, 0
	s_mul_hi_u32 s62, s53, s3
	s_cmp_lg_u32 s57, 0
	s_mul_i32 s57, s53, s3
	s_addc_u32 s0, s0, s61
	s_mul_i32 s56, s56, s3
	s_mul_i32 s53, s53, s0
	s_mul_hi_u32 s61, s3, s57
	s_add_i32 s53, s62, s53
	s_mul_hi_u32 s62, s0, s57
	s_add_i32 s53, s53, s56
	s_mul_i32 s56, s0, s57
	s_mul_i32 s64, s3, s53
	s_mul_hi_u32 s63, s3, s53
	s_add_u32 s61, s61, s64
	s_addc_u32 s63, 0, s63
	s_mul_hi_u32 s57, s0, s53
	s_add_u32 s56, s61, s56
	s_mul_i32 s53, s0, s53
	s_addc_u32 s56, s63, s62
	s_addc_u32 s57, s57, 0
	s_add_u32 s53, s56, s53
	s_addc_u32 s56, 0, s57
	s_add_u32 s3, s3, s53
	s_cselect_b32 s53, -1, 0
	v_mul_hi_u32 v26, v5, s3
	s_cmp_lg_u32 s53, 0
	v_mad_u64_u32 v[16:17], null, v25, s3, 0
	s_addc_u32 s0, s0, s56
	v_mad_u64_u32 v[2:3], null, v5, s0, 0
	v_mad_u64_u32 v[22:23], null, v25, s0, 0
	v_add_co_u32 v2, vcc_lo, v26, v2
	v_add_co_ci_u32_e64 v3, null, 0, v3, vcc_lo
	v_add_co_u32 v2, vcc_lo, v2, v16
	v_add_co_ci_u32_e32 v2, vcc_lo, v3, v17, vcc_lo
	v_add_co_ci_u32_e32 v3, vcc_lo, 0, v23, vcc_lo
	v_add_co_u32 v16, vcc_lo, v2, v22
	v_add_co_ci_u32_e64 v17, null, 0, v3, vcc_lo
	v_mul_lo_u32 v22, s55, v16
	v_mad_u64_u32 v[2:3], null, s54, v16, 0
	v_mul_lo_u32 v23, s54, v17
	v_sub_co_u32 v2, vcc_lo, v5, v2
	v_add3_u32 v3, v3, v23, v22
	v_sub_nc_u32_e32 v22, v25, v3
	v_sub_co_ci_u32_e64 v3, null, v25, v3, vcc_lo
	v_subrev_co_ci_u32_e64 v5, null, s55, v22, vcc_lo
	v_add_co_u32 v22, s0, v16, 2
	v_add_co_ci_u32_e64 v23, null, 0, v17, s0
	v_sub_co_u32 v26, s0, v2, s54
	v_subrev_co_ci_u32_e64 v5, null, 0, v5, s0
	v_cmp_le_u32_e32 vcc_lo, s54, v26
	v_cndmask_b32_e64 v25, 0, -1, vcc_lo
	v_cmp_le_u32_e32 vcc_lo, s55, v5
	v_cndmask_b32_e64 v26, 0, -1, vcc_lo
	;; [unrolled: 2-line block ×4, first 2 shown]
	v_cmp_eq_u32_e32 vcc_lo, s55, v5
	v_cndmask_b32_e32 v5, v26, v25, vcc_lo
	v_add_co_u32 v25, vcc_lo, v16, 1
	v_add_co_ci_u32_e64 v26, null, 0, v17, vcc_lo
	v_cmp_eq_u32_e32 vcc_lo, s55, v3
	v_cndmask_b32_e32 v2, v27, v2, vcc_lo
	v_cmp_ne_u32_e32 vcc_lo, 0, v5
	v_xor_b32_e32 v5, s2, v24
	v_cmp_ne_u32_e64 s0, 0, v2
	v_cndmask_b32_e32 v2, v25, v22, vcc_lo
	v_cndmask_b32_e32 v3, v26, v23, vcc_lo
	v_cndmask_b32_e64 v2, v16, v2, s0
	v_cndmask_b32_e64 v3, v17, v3, s0
	v_xor_b32_e32 v2, v2, v5
	v_xor_b32_e32 v3, v3, v5
	v_sub_co_u32 v26, vcc_lo, v2, v5
	v_sub_co_ci_u32_e64 v27, null, v3, v5, vcc_lo
                                        ; implicit-def: $vgpr2
.LBB2_28:                               ;   in Loop: Header=BB2_4 Depth=1
	s_andn2_saveexec_b32 s0, s1
	s_cbranch_execz .LBB2_30
; %bb.29:                               ;   in Loop: Header=BB2_4 Depth=1
	v_cvt_f32_u32_e32 v3, s42
	s_sub_i32 s1, 0, s42
	v_mov_b32_e32 v27, v4
	v_rcp_iflag_f32_e32 v3, v3
	v_mul_f32_e32 v3, 0x4f7ffffe, v3
	v_cvt_u32_f32_e32 v3, v3
	v_mul_lo_u32 v5, s1, v3
	v_mul_hi_u32 v5, v3, v5
	v_add_nc_u32_e32 v3, v3, v5
	v_mul_hi_u32 v3, v2, v3
	v_mul_lo_u32 v5, v3, s42
	v_sub_nc_u32_e32 v2, v2, v5
	v_add_nc_u32_e32 v5, 1, v3
	v_subrev_nc_u32_e32 v16, s42, v2
	v_cmp_le_u32_e32 vcc_lo, s42, v2
	v_cndmask_b32_e32 v2, v2, v16, vcc_lo
	v_cndmask_b32_e32 v3, v3, v5, vcc_lo
	v_cmp_le_u32_e32 vcc_lo, s42, v2
	v_add_nc_u32_e32 v5, 1, v3
	v_cndmask_b32_e32 v26, v3, v5, vcc_lo
.LBB2_30:                               ;   in Loop: Header=BB2_4 Depth=1
	s_or_b32 exec_lo, exec_lo, s0
	v_add_co_u32 v16, vcc_lo, v0, s36
	v_mov_b32_e32 v22, 0
	v_add_co_ci_u32_e64 v17, null, s37, v1, vcc_lo
	v_mov_b32_e32 v23, 0
	s_mov_b32 s1, exec_lo
	v_cmpx_lt_i64_e64 s[30:31], v[16:17]
	s_cbranch_execz .LBB2_36
; %bb.31:                               ;   in Loop: Header=BB2_4 Depth=1
	v_add_co_u32 v2, vcc_lo, v16, s34
	v_add_co_ci_u32_e64 v3, null, s35, v17, vcc_lo
                                        ; implicit-def: $vgpr0_vgpr1
	s_mov_b32 s0, exec_lo
	v_or_b32_e32 v5, s41, v3
	v_cmpx_ne_u64_e32 0, v[4:5]
	s_xor_b32 s53, exec_lo, s0
	s_cbranch_execz .LBB2_33
; %bb.32:                               ;   in Loop: Header=BB2_4 Depth=1
	s_ashr_i32 s2, s41, 31
	v_ashrrev_i32_e32 v5, 31, v3
	s_add_u32 s54, s40, s2
	s_mov_b32 s3, s2
	s_addc_u32 s55, s41, s2
	s_xor_b64 s[54:55], s[54:55], s[2:3]
	v_add_co_u32 v2, vcc_lo, v2, v5
	v_cvt_f32_u32_e32 v0, s54
	v_cvt_f32_u32_e32 v1, s55
	s_sub_u32 s56, 0, s54
	s_subb_u32 s57, 0, s55
	v_add_co_ci_u32_e64 v3, null, v3, v5, vcc_lo
	v_fmac_f32_e32 v0, 0x4f800000, v1
	v_xor_b32_e32 v24, v2, v5
	v_xor_b32_e32 v25, v3, v5
	;; [unrolled: 1-line block ×3, first 2 shown]
	v_rcp_f32_e32 v0, v0
	v_mul_f32_e32 v0, 0x5f7ffffc, v0
	v_mul_f32_e32 v1, 0x2f800000, v0
	v_trunc_f32_e32 v1, v1
	v_fmac_f32_e32 v0, 0xcf800000, v1
	v_cvt_u32_f32_e32 v1, v1
	v_cvt_u32_f32_e32 v0, v0
	v_readfirstlane_b32 s0, v1
	v_readfirstlane_b32 s3, v0
	s_mul_i32 s61, s56, s0
	s_mul_hi_u32 s63, s56, s3
	s_mul_i32 s62, s57, s3
	s_add_i32 s61, s63, s61
	s_mul_i32 s64, s56, s3
	s_add_i32 s61, s61, s62
	s_mul_hi_u32 s63, s3, s64
	s_mul_i32 s66, s3, s61
	s_mul_hi_u32 s65, s0, s64
	s_mul_i32 s62, s0, s64
	s_mul_hi_u32 s64, s3, s61
	s_add_u32 s63, s63, s66
	s_addc_u32 s64, 0, s64
	s_mul_hi_u32 s67, s0, s61
	s_add_u32 s62, s63, s62
	s_mul_i32 s61, s0, s61
	s_addc_u32 s62, s64, s65
	s_addc_u32 s63, s67, 0
	s_add_u32 s61, s62, s61
	s_addc_u32 s62, 0, s63
	s_add_u32 s3, s3, s61
	s_cselect_b32 s61, -1, 0
	s_mul_hi_u32 s63, s56, s3
	s_cmp_lg_u32 s61, 0
	s_mul_i32 s61, s56, s3
	s_addc_u32 s0, s0, s62
	s_mul_i32 s57, s57, s3
	s_mul_i32 s56, s56, s0
	s_mul_hi_u32 s62, s3, s61
	s_add_i32 s56, s63, s56
	s_mul_hi_u32 s63, s0, s61
	s_add_i32 s56, s56, s57
	s_mul_i32 s57, s0, s61
	s_mul_i32 s65, s3, s56
	s_mul_hi_u32 s64, s3, s56
	s_add_u32 s62, s62, s65
	s_addc_u32 s64, 0, s64
	s_mul_hi_u32 s61, s0, s56
	s_add_u32 s57, s62, s57
	s_mul_i32 s56, s0, s56
	s_addc_u32 s57, s64, s63
	s_addc_u32 s61, s61, 0
	s_add_u32 s56, s57, s56
	s_addc_u32 s57, 0, s61
	s_add_u32 s3, s3, s56
	s_cselect_b32 s56, -1, 0
	v_mul_hi_u32 v28, v24, s3
	s_cmp_lg_u32 s56, 0
	v_mad_u64_u32 v[2:3], null, v25, s3, 0
	s_addc_u32 s0, s0, s57
	v_mad_u64_u32 v[0:1], null, v24, s0, 0
	v_mad_u64_u32 v[22:23], null, v25, s0, 0
	v_add_co_u32 v0, vcc_lo, v28, v0
	v_add_co_ci_u32_e64 v1, null, 0, v1, vcc_lo
	v_add_co_u32 v0, vcc_lo, v0, v2
	v_add_co_ci_u32_e32 v0, vcc_lo, v1, v3, vcc_lo
	v_add_co_ci_u32_e32 v1, vcc_lo, 0, v23, vcc_lo
	v_add_co_u32 v2, vcc_lo, v0, v22
	v_add_co_ci_u32_e64 v3, null, 0, v1, vcc_lo
	v_mul_lo_u32 v22, s55, v2
	v_mad_u64_u32 v[0:1], null, s54, v2, 0
	v_mul_lo_u32 v23, s54, v3
	v_sub_co_u32 v0, vcc_lo, v24, v0
	v_add3_u32 v1, v1, v23, v22
	v_add_co_u32 v23, s0, v2, 2
	v_add_co_ci_u32_e64 v24, null, 0, v3, s0
	v_sub_nc_u32_e32 v22, v25, v1
	v_sub_co_u32 v28, s0, v0, s54
	v_sub_co_ci_u32_e64 v1, null, v25, v1, vcc_lo
	v_subrev_co_ci_u32_e64 v22, null, s55, v22, vcc_lo
	v_cmp_le_u32_e32 vcc_lo, s54, v28
	v_subrev_co_ci_u32_e64 v22, null, 0, v22, s0
	v_cndmask_b32_e64 v25, 0, -1, vcc_lo
	v_cmp_le_u32_e32 vcc_lo, s55, v22
	v_cndmask_b32_e64 v28, 0, -1, vcc_lo
	v_cmp_le_u32_e32 vcc_lo, s54, v0
	;; [unrolled: 2-line block ×3, first 2 shown]
	v_cndmask_b32_e64 v29, 0, -1, vcc_lo
	v_cmp_eq_u32_e32 vcc_lo, s55, v22
	v_cndmask_b32_e32 v22, v28, v25, vcc_lo
	v_add_co_u32 v25, vcc_lo, v2, 1
	v_add_co_ci_u32_e64 v28, null, 0, v3, vcc_lo
	v_cmp_eq_u32_e32 vcc_lo, s55, v1
	v_cndmask_b32_e32 v0, v29, v0, vcc_lo
	v_cmp_ne_u32_e32 vcc_lo, 0, v22
	v_cmp_ne_u32_e64 s0, 0, v0
	v_cndmask_b32_e32 v0, v25, v23, vcc_lo
	v_cndmask_b32_e32 v1, v28, v24, vcc_lo
	v_cndmask_b32_e64 v0, v2, v0, s0
	v_cndmask_b32_e64 v1, v3, v1, s0
                                        ; implicit-def: $vgpr2
	v_xor_b32_e32 v0, v0, v5
	v_xor_b32_e32 v1, v1, v5
	v_sub_co_u32 v0, vcc_lo, v0, v5
	v_sub_co_ci_u32_e64 v1, null, v1, v5, vcc_lo
.LBB2_33:                               ;   in Loop: Header=BB2_4 Depth=1
	s_andn2_saveexec_b32 s0, s53
	s_cbranch_execz .LBB2_35
; %bb.34:                               ;   in Loop: Header=BB2_4 Depth=1
	v_cvt_f32_u32_e32 v0, s40
	s_sub_i32 s2, 0, s40
	v_rcp_iflag_f32_e32 v0, v0
	v_mul_f32_e32 v0, 0x4f7ffffe, v0
	v_cvt_u32_f32_e32 v0, v0
	v_mul_lo_u32 v1, s2, v0
	v_mul_hi_u32 v1, v0, v1
	v_add_nc_u32_e32 v0, v0, v1
	v_mul_hi_u32 v0, v2, v0
	v_mul_lo_u32 v1, v0, s40
	v_sub_nc_u32_e32 v1, v2, v1
	v_add_nc_u32_e32 v2, 1, v0
	v_subrev_nc_u32_e32 v3, s40, v1
	v_cmp_le_u32_e32 vcc_lo, s40, v1
	v_cndmask_b32_e32 v1, v1, v3, vcc_lo
	v_cndmask_b32_e32 v0, v0, v2, vcc_lo
	v_cmp_le_u32_e32 vcc_lo, s40, v1
	v_add_nc_u32_e32 v2, 1, v0
	v_mov_b32_e32 v1, v4
	v_cndmask_b32_e32 v0, v0, v2, vcc_lo
.LBB2_35:                               ;   in Loop: Header=BB2_4 Depth=1
	s_or_b32 exec_lo, exec_lo, s0
	v_add_co_u32 v22, vcc_lo, v0, 1
	v_add_co_ci_u32_e64 v23, null, 0, v1, vcc_lo
.LBB2_36:                               ;   in Loop: Header=BB2_4 Depth=1
	s_or_b32 exec_lo, exec_lo, s1
	v_or_b32_e32 v5, s41, v17
                                        ; implicit-def: $vgpr0_vgpr1
	s_mov_b32 s0, exec_lo
	v_cmpx_ne_u64_e32 0, v[4:5]
	s_xor_b32 s1, exec_lo, s0
	s_cbranch_execz .LBB2_38
; %bb.37:                               ;   in Loop: Header=BB2_4 Depth=1
	s_ashr_i32 s2, s41, 31
	v_ashrrev_i32_e32 v5, 31, v17
	s_add_u32 s54, s40, s2
	s_mov_b32 s3, s2
	s_addc_u32 s55, s41, s2
	s_xor_b64 s[54:55], s[54:55], s[2:3]
	v_add_co_u32 v2, vcc_lo, v16, v5
	v_cvt_f32_u32_e32 v0, s54
	v_cvt_f32_u32_e32 v1, s55
	s_sub_u32 s53, 0, s54
	s_subb_u32 s56, 0, s55
	v_add_co_ci_u32_e64 v3, null, v17, v5, vcc_lo
	v_fmac_f32_e32 v0, 0x4f800000, v1
	v_xor_b32_e32 v28, v2, v5
	v_xor_b32_e32 v29, v3, v5
	;; [unrolled: 1-line block ×3, first 2 shown]
	v_rcp_f32_e32 v0, v0
	v_mul_f32_e32 v0, 0x5f7ffffc, v0
	v_mul_f32_e32 v1, 0x2f800000, v0
	v_trunc_f32_e32 v1, v1
	v_fmac_f32_e32 v0, 0xcf800000, v1
	v_cvt_u32_f32_e32 v1, v1
	v_cvt_u32_f32_e32 v0, v0
	v_readfirstlane_b32 s0, v1
	v_readfirstlane_b32 s3, v0
	s_mul_i32 s57, s53, s0
	s_mul_hi_u32 s62, s53, s3
	s_mul_i32 s61, s56, s3
	s_add_i32 s57, s62, s57
	s_mul_i32 s63, s53, s3
	s_add_i32 s57, s57, s61
	s_mul_hi_u32 s62, s3, s63
	s_mul_i32 s65, s3, s57
	s_mul_hi_u32 s64, s0, s63
	s_mul_i32 s61, s0, s63
	s_mul_hi_u32 s63, s3, s57
	s_add_u32 s62, s62, s65
	s_addc_u32 s63, 0, s63
	s_mul_hi_u32 s66, s0, s57
	s_add_u32 s61, s62, s61
	s_mul_i32 s57, s0, s57
	s_addc_u32 s61, s63, s64
	s_addc_u32 s62, s66, 0
	s_add_u32 s57, s61, s57
	s_addc_u32 s61, 0, s62
	s_add_u32 s3, s3, s57
	s_cselect_b32 s57, -1, 0
	s_mul_hi_u32 s62, s53, s3
	s_cmp_lg_u32 s57, 0
	s_mul_i32 s57, s53, s3
	s_addc_u32 s0, s0, s61
	s_mul_i32 s56, s56, s3
	s_mul_i32 s53, s53, s0
	s_mul_hi_u32 s61, s3, s57
	s_add_i32 s53, s62, s53
	s_mul_hi_u32 s62, s0, s57
	s_add_i32 s53, s53, s56
	s_mul_i32 s56, s0, s57
	s_mul_i32 s64, s3, s53
	s_mul_hi_u32 s63, s3, s53
	s_add_u32 s61, s61, s64
	s_addc_u32 s63, 0, s63
	s_mul_hi_u32 s57, s0, s53
	s_add_u32 s56, s61, s56
	s_mul_i32 s53, s0, s53
	s_addc_u32 s56, s63, s62
	s_addc_u32 s57, s57, 0
	s_add_u32 s53, s56, s53
	s_addc_u32 s56, 0, s57
	s_add_u32 s3, s3, s53
	s_cselect_b32 s53, -1, 0
	v_mul_hi_u32 v30, v28, s3
	s_cmp_lg_u32 s53, 0
	v_mad_u64_u32 v[2:3], null, v29, s3, 0
	s_addc_u32 s0, s0, s56
	v_mad_u64_u32 v[0:1], null, v28, s0, 0
	v_mad_u64_u32 v[24:25], null, v29, s0, 0
	v_add_co_u32 v0, vcc_lo, v30, v0
	v_add_co_ci_u32_e64 v1, null, 0, v1, vcc_lo
	v_add_co_u32 v0, vcc_lo, v0, v2
	v_add_co_ci_u32_e32 v0, vcc_lo, v1, v3, vcc_lo
	v_add_co_ci_u32_e32 v1, vcc_lo, 0, v25, vcc_lo
	v_add_co_u32 v2, vcc_lo, v0, v24
	v_add_co_ci_u32_e64 v3, null, 0, v1, vcc_lo
	v_mul_lo_u32 v24, s55, v2
	v_mad_u64_u32 v[0:1], null, s54, v2, 0
	v_mul_lo_u32 v25, s54, v3
	v_sub_co_u32 v0, vcc_lo, v28, v0
	v_add3_u32 v1, v1, v25, v24
	v_add_co_u32 v25, s0, v2, 2
	v_add_co_ci_u32_e64 v28, null, 0, v3, s0
	v_sub_nc_u32_e32 v24, v29, v1
	v_sub_co_u32 v30, s0, v0, s54
	v_sub_co_ci_u32_e64 v1, null, v29, v1, vcc_lo
	v_subrev_co_ci_u32_e64 v24, null, s55, v24, vcc_lo
	v_cmp_le_u32_e32 vcc_lo, s54, v30
	v_subrev_co_ci_u32_e64 v24, null, 0, v24, s0
	v_cndmask_b32_e64 v29, 0, -1, vcc_lo
	v_cmp_le_u32_e32 vcc_lo, s55, v24
	v_cndmask_b32_e64 v30, 0, -1, vcc_lo
	v_cmp_le_u32_e32 vcc_lo, s54, v0
	;; [unrolled: 2-line block ×3, first 2 shown]
	v_cndmask_b32_e64 v31, 0, -1, vcc_lo
	v_cmp_eq_u32_e32 vcc_lo, s55, v24
	v_cndmask_b32_e32 v24, v30, v29, vcc_lo
	v_add_co_u32 v29, vcc_lo, v2, 1
	v_add_co_ci_u32_e64 v30, null, 0, v3, vcc_lo
	v_cmp_eq_u32_e32 vcc_lo, s55, v1
	v_cndmask_b32_e32 v0, v31, v0, vcc_lo
	v_cmp_ne_u32_e32 vcc_lo, 0, v24
	v_cmp_ne_u32_e64 s0, 0, v0
	v_cndmask_b32_e32 v0, v29, v25, vcc_lo
	v_cndmask_b32_e32 v1, v30, v28, vcc_lo
	v_cndmask_b32_e64 v0, v2, v0, s0
	v_cndmask_b32_e64 v1, v3, v1, s0
	v_xor_b32_e32 v0, v0, v5
	v_xor_b32_e32 v1, v1, v5
	v_sub_co_u32 v0, vcc_lo, v0, v5
	v_sub_co_ci_u32_e64 v1, null, v1, v5, vcc_lo
.LBB2_38:                               ;   in Loop: Header=BB2_4 Depth=1
	s_andn2_saveexec_b32 s0, s1
	s_cbranch_execz .LBB2_40
; %bb.39:                               ;   in Loop: Header=BB2_4 Depth=1
	v_cvt_f32_u32_e32 v0, s40
	s_sub_i32 s1, 0, s40
	v_rcp_iflag_f32_e32 v0, v0
	v_mul_f32_e32 v0, 0x4f7ffffe, v0
	v_cvt_u32_f32_e32 v0, v0
	v_mul_lo_u32 v1, s1, v0
	v_mul_hi_u32 v1, v0, v1
	v_add_nc_u32_e32 v0, v0, v1
	v_mul_hi_u32 v0, v16, v0
	v_mul_lo_u32 v1, v0, s40
	v_add_nc_u32_e32 v2, 1, v0
	v_sub_nc_u32_e32 v1, v16, v1
	v_subrev_nc_u32_e32 v3, s40, v1
	v_cmp_le_u32_e32 vcc_lo, s40, v1
	v_cndmask_b32_e32 v1, v1, v3, vcc_lo
	v_cndmask_b32_e32 v0, v0, v2, vcc_lo
	v_cmp_le_u32_e32 vcc_lo, s40, v1
	v_add_nc_u32_e32 v2, 1, v0
	v_mov_b32_e32 v1, v4
	v_cndmask_b32_e32 v0, v0, v2, vcc_lo
.LBB2_40:                               ;   in Loop: Header=BB2_4 Depth=1
	s_or_b32 exec_lo, exec_lo, s0
	v_add_co_u32 v0, vcc_lo, v0, 1
	v_add_co_ci_u32_e64 v1, null, 0, v1, vcc_lo
	v_mov_b32_e32 v2, 0
	v_mov_b32_e32 v3, 0
	s_mov_b32 s53, exec_lo
	v_cmp_gt_i64_e32 vcc_lo, s[48:49], v[0:1]
	v_cndmask_b32_e32 v25, s49, v1, vcc_lo
	v_cndmask_b32_e32 v24, s48, v0, vcc_lo
	v_mov_b32_e32 v0, 0
	v_mov_b32_e32 v1, 0
	v_cmpx_lt_i64_e64 v[22:23], v[24:25]
	s_cbranch_execz .LBB2_3
; %bb.41:                               ;   in Loop: Header=BB2_4 Depth=1
	v_add_co_u32 v0, vcc_lo, v26, 1
	v_add_co_ci_u32_e64 v1, null, 0, v27, vcc_lo
	v_mul_lo_u32 v30, s43, v14
	v_mul_lo_u32 v31, s42, v15
	v_mad_u64_u32 v[2:3], null, s42, v14, 0
	v_cmp_gt_i64_e32 vcc_lo, s[50:51], v[0:1]
	v_mul_lo_u32 v5, v19, s20
	v_mul_lo_u32 v28, v18, s21
	v_mad_u64_u32 v[18:19], null, v18, s20, 0
	v_mul_lo_u32 v29, s12, v9
	v_cndmask_b32_e32 v27, s51, v1, vcc_lo
	v_cndmask_b32_e32 v26, s50, v0, vcc_lo
	v_lshlrev_b64 v[0:1], 4, v[14:15]
	v_add_co_u32 v33, vcc_lo, s38, v6
	v_add_co_ci_u32_e64 v34, null, s39, v7, vcc_lo
	v_add3_u32 v3, v3, v31, v30
	v_mul_lo_u32 v32, s13, v8
	v_mad_u64_u32 v[0:1], null, s12, v8, v[0:1]
	v_sub_co_u32 v2, vcc_lo, v33, v2
	v_sub_co_ci_u32_e64 v3, null, v34, v3, vcc_lo
	v_add3_u32 v19, v19, v28, v5
	v_sub_co_u32 v5, vcc_lo, v2, v20
	v_add3_u32 v1, v32, v1, v29
	v_sub_co_ci_u32_e64 v28, null, v3, v21, vcc_lo
	v_mov_b32_e32 v2, 0
	v_mov_b32_e32 v3, 0
	v_add_co_u32 v20, vcc_lo, s10, v0
	v_add_co_ci_u32_e64 v21, null, s11, v1, vcc_lo
	v_sub_co_u32 v12, vcc_lo, v5, v12
	v_cmp_lt_i64_e64 s0, v[14:15], v[26:27]
	v_mov_b32_e32 v0, v2
	v_sub_co_ci_u32_e64 v13, null, v28, v13, vcc_lo
	v_mov_b32_e32 v1, v3
	s_mov_b32 s61, 0
	s_branch .LBB2_44
.LBB2_42:                               ;   in Loop: Header=BB2_44 Depth=2
	s_or_b32 exec_lo, exec_lo, s3
.LBB2_43:                               ;   in Loop: Header=BB2_44 Depth=2
	s_or_b32 exec_lo, exec_lo, s62
	v_add_co_u32 v22, vcc_lo, v22, 1
	v_add_co_ci_u32_e64 v23, null, 0, v23, vcc_lo
	v_cmp_ge_i64_e32 vcc_lo, v[22:23], v[24:25]
	s_or_b32 s61, vcc_lo, s61
	s_andn2_b32 exec_lo, exec_lo, s61
	s_cbranch_execz .LBB2_2
.LBB2_44:                               ;   Parent Loop BB2_4 Depth=1
                                        ; =>  This Loop Header: Depth=2
                                        ;       Child Loop BB2_52 Depth 3
	s_and_saveexec_b32 s62, s0
	s_cbranch_execz .LBB2_43
; %bb.45:                               ;   in Loop: Header=BB2_44 Depth=2
	v_mul_lo_u32 v5, v23, s40
	v_mul_lo_u32 v30, v22, s41
	v_mad_u64_u32 v[28:29], null, v22, s40, 0
	s_mov_b32 s1, exec_lo
	v_add3_u32 v5, v29, v30, v5
	v_sub_co_u32 v30, vcc_lo, v16, v28
                                        ; implicit-def: $vgpr28_vgpr29
	v_sub_co_ci_u32_e64 v31, null, v17, v5, vcc_lo
	v_or_b32_e32 v5, s45, v31
	v_cmpx_ne_u64_e32 0, v[4:5]
	s_xor_b32 s56, exec_lo, s1
	s_cbranch_execz .LBB2_47
; %bb.46:                               ;   in Loop: Header=BB2_44 Depth=2
	s_ashr_i32 s2, s45, 31
	v_ashrrev_i32_e32 v36, 31, v31
	s_add_u32 s54, s44, s2
	s_mov_b32 s3, s2
	s_addc_u32 s55, s45, s2
	s_xor_b64 s[54:55], s[54:55], s[2:3]
	v_add_co_u32 v29, vcc_lo, v30, v36
	v_cvt_f32_u32_e32 v5, s54
	v_cvt_f32_u32_e32 v28, s55
	s_sub_u32 s57, 0, s54
	s_subb_u32 s63, 0, s55
	v_add_co_ci_u32_e64 v32, null, v31, v36, vcc_lo
	v_fmac_f32_e32 v5, 0x4f800000, v28
	v_xor_b32_e32 v37, v32, v36
	v_rcp_f32_e32 v5, v5
	v_mul_f32_e32 v5, 0x5f7ffffc, v5
	v_mul_f32_e32 v28, 0x2f800000, v5
	v_trunc_f32_e32 v28, v28
	v_fmac_f32_e32 v5, 0xcf800000, v28
	v_cvt_u32_f32_e32 v28, v28
	v_cvt_u32_f32_e32 v5, v5
	v_readfirstlane_b32 s1, v28
	v_readfirstlane_b32 s3, v5
	s_mul_i32 s64, s57, s1
	v_xor_b32_e32 v5, v29, v36
	s_mul_hi_u32 s66, s57, s3
	s_mul_i32 s65, s63, s3
	s_add_i32 s64, s66, s64
	s_mul_i32 s67, s57, s3
	s_add_i32 s64, s64, s65
	s_mul_hi_u32 s66, s3, s67
	s_mul_i32 s69, s3, s64
	s_mul_hi_u32 s68, s1, s67
	s_mul_i32 s65, s1, s67
	s_mul_hi_u32 s67, s3, s64
	s_add_u32 s66, s66, s69
	s_addc_u32 s67, 0, s67
	s_mul_hi_u32 s70, s1, s64
	s_add_u32 s65, s66, s65
	s_mul_i32 s64, s1, s64
	s_addc_u32 s65, s67, s68
	s_addc_u32 s66, s70, 0
	s_add_u32 s64, s65, s64
	s_addc_u32 s65, 0, s66
	s_add_u32 s3, s3, s64
	s_cselect_b32 s64, -1, 0
	s_mul_hi_u32 s66, s57, s3
	s_cmp_lg_u32 s64, 0
	s_mul_i32 s64, s57, s3
	s_addc_u32 s1, s1, s65
	s_mul_i32 s63, s63, s3
	s_mul_i32 s57, s57, s1
	s_mul_hi_u32 s65, s3, s64
	s_add_i32 s57, s66, s57
	s_mul_hi_u32 s66, s1, s64
	s_add_i32 s57, s57, s63
	s_mul_i32 s63, s1, s64
	s_mul_i32 s68, s3, s57
	s_mul_hi_u32 s67, s3, s57
	s_add_u32 s65, s65, s68
	s_addc_u32 s67, 0, s67
	s_mul_hi_u32 s64, s1, s57
	s_add_u32 s63, s65, s63
	s_mul_i32 s57, s1, s57
	s_addc_u32 s63, s67, s66
	s_addc_u32 s64, s64, 0
	s_add_u32 s57, s63, s57
	s_addc_u32 s63, 0, s64
	s_add_u32 s3, s3, s57
	s_cselect_b32 s57, -1, 0
	v_mul_hi_u32 v39, v5, s3
	s_cmp_lg_u32 s57, 0
	v_mad_u64_u32 v[32:33], null, v37, s3, 0
	s_addc_u32 s1, s1, s63
	v_mad_u64_u32 v[28:29], null, v5, s1, 0
	v_mad_u64_u32 v[34:35], null, v37, s1, 0
	v_add_co_u32 v28, vcc_lo, v39, v28
	v_add_co_ci_u32_e64 v29, null, 0, v29, vcc_lo
	v_add_co_u32 v28, vcc_lo, v28, v32
	v_add_co_ci_u32_e32 v28, vcc_lo, v29, v33, vcc_lo
	v_add_co_ci_u32_e32 v29, vcc_lo, 0, v35, vcc_lo
	v_add_co_u32 v32, vcc_lo, v28, v34
	v_add_co_ci_u32_e64 v33, null, 0, v29, vcc_lo
	v_mul_lo_u32 v34, s55, v32
	v_mad_u64_u32 v[28:29], null, s54, v32, 0
	v_mul_lo_u32 v35, s54, v33
	v_sub_co_u32 v5, vcc_lo, v5, v28
	v_add3_u32 v29, v29, v35, v34
	v_sub_nc_u32_e32 v34, v37, v29
	v_sub_co_ci_u32_e64 v29, null, v37, v29, vcc_lo
	v_subrev_co_ci_u32_e64 v28, null, s55, v34, vcc_lo
	v_add_co_u32 v34, s1, v32, 2
	v_add_co_ci_u32_e64 v35, null, 0, v33, s1
	v_sub_co_u32 v39, s1, v5, s54
	v_subrev_co_ci_u32_e64 v28, null, 0, v28, s1
	v_cmp_le_u32_e32 vcc_lo, s54, v39
	v_cndmask_b32_e64 v37, 0, -1, vcc_lo
	v_cmp_le_u32_e32 vcc_lo, s55, v28
	v_cndmask_b32_e64 v39, 0, -1, vcc_lo
	;; [unrolled: 2-line block ×4, first 2 shown]
	v_cmp_eq_u32_e32 vcc_lo, s55, v28
	v_cndmask_b32_e32 v28, v39, v37, vcc_lo
	v_add_co_u32 v37, vcc_lo, v32, 1
	v_add_co_ci_u32_e64 v39, null, 0, v33, vcc_lo
	v_cmp_eq_u32_e32 vcc_lo, s55, v29
	v_xor_b32_e32 v29, s2, v36
	v_cndmask_b32_e32 v5, v40, v5, vcc_lo
	v_cmp_ne_u32_e32 vcc_lo, 0, v28
	v_cmp_ne_u32_e64 s1, 0, v5
	v_cndmask_b32_e32 v5, v37, v34, vcc_lo
	v_cndmask_b32_e32 v28, v39, v35, vcc_lo
	v_cndmask_b32_e64 v5, v32, v5, s1
	v_cndmask_b32_e64 v28, v33, v28, s1
	v_xor_b32_e32 v5, v5, v29
	v_xor_b32_e32 v32, v28, v29
	v_sub_co_u32 v28, vcc_lo, v5, v29
	v_sub_co_ci_u32_e64 v29, null, v32, v29, vcc_lo
.LBB2_47:                               ;   in Loop: Header=BB2_44 Depth=2
	s_andn2_saveexec_b32 s1, s56
	s_cbranch_execz .LBB2_49
; %bb.48:                               ;   in Loop: Header=BB2_44 Depth=2
	v_cvt_f32_u32_e32 v5, s44
	s_sub_i32 s2, 0, s44
	v_rcp_iflag_f32_e32 v5, v5
	v_mul_f32_e32 v5, 0x4f7ffffe, v5
	v_cvt_u32_f32_e32 v5, v5
	v_mul_lo_u32 v28, s2, v5
	v_mul_hi_u32 v28, v5, v28
	v_add_nc_u32_e32 v5, v5, v28
	v_mul_hi_u32 v5, v30, v5
	v_mul_lo_u32 v28, v5, s44
	v_add_nc_u32_e32 v29, 1, v5
	v_sub_nc_u32_e32 v28, v30, v28
	v_subrev_nc_u32_e32 v32, s44, v28
	v_cmp_le_u32_e32 vcc_lo, s44, v28
	v_cndmask_b32_e32 v28, v28, v32, vcc_lo
	v_cndmask_b32_e32 v5, v5, v29, vcc_lo
	v_cmp_le_u32_e32 vcc_lo, s44, v28
	v_add_nc_u32_e32 v29, 1, v5
	v_cndmask_b32_e32 v28, v5, v29, vcc_lo
	v_mov_b32_e32 v29, v4
.LBB2_49:                               ;   in Loop: Header=BB2_44 Depth=2
	s_or_b32 exec_lo, exec_lo, s1
	v_mul_lo_u32 v5, v29, s44
	v_mul_lo_u32 v34, v28, s45
	v_mad_u64_u32 v[32:33], null, v28, s44, 0
	v_add_co_u32 v28, vcc_lo, v28, v18
	v_add_co_ci_u32_e64 v29, null, v29, v19, vcc_lo
	s_mov_b32 s3, 0
	v_add3_u32 v5, v33, v34, v5
	v_mul_lo_u32 v33, v29, s22
	v_mul_lo_u32 v34, v28, s23
	v_mad_u64_u32 v[28:29], null, v28, s22, 0
	v_sub_co_u32 v30, vcc_lo, v30, v32
	v_sub_co_ci_u32_e64 v31, null, v31, v5, vcc_lo
	v_add3_u32 v29, v29, v34, v33
	v_cmp_eq_u64_e64 s1, 0, v[30:31]
	v_mov_b32_e32 v31, v13
	v_mov_b32_e32 v33, v21
	;; [unrolled: 1-line block ×6, first 2 shown]
	s_branch .LBB2_52
.LBB2_50:                               ;   in Loop: Header=BB2_52 Depth=3
	s_or_b32 exec_lo, exec_lo, s2
.LBB2_51:                               ;   in Loop: Header=BB2_52 Depth=3
	s_or_b32 exec_lo, exec_lo, s63
	v_add_co_u32 v34, vcc_lo, v34, 1
	v_add_co_ci_u32_e64 v35, null, 0, v35, vcc_lo
	v_add_co_u32 v32, vcc_lo, v32, 16
	v_add_co_ci_u32_e64 v33, null, 0, v33, vcc_lo
	v_cmp_ge_i64_e32 vcc_lo, v[34:35], v[26:27]
	v_sub_co_u32 v30, s2, v30, s42
	v_subrev_co_ci_u32_e64 v31, null, s43, v31, s2
	s_or_b32 s3, vcc_lo, s3
	s_andn2_b32 exec_lo, exec_lo, s3
	s_cbranch_execz .LBB2_42
.LBB2_52:                               ;   Parent Loop BB2_4 Depth=1
                                        ;     Parent Loop BB2_44 Depth=2
                                        ; =>    This Inner Loop Header: Depth=3
	s_and_saveexec_b32 s63, s1
	s_cbranch_execz .LBB2_51
; %bb.53:                               ;   in Loop: Header=BB2_52 Depth=3
	v_or_b32_e32 v5, s47, v31
                                        ; implicit-def: $vgpr36_vgpr37
	s_mov_b32 s2, exec_lo
	v_cmpx_ne_u64_e32 0, v[4:5]
	s_xor_b32 s64, exec_lo, s2
	s_cbranch_execz .LBB2_55
; %bb.54:                               ;   in Loop: Header=BB2_52 Depth=3
	s_ashr_i32 s54, s47, 31
	v_ashrrev_i32_e32 v43, 31, v31
	s_add_u32 s56, s46, s54
	s_mov_b32 s55, s54
	s_addc_u32 s57, s47, s54
	s_xor_b64 s[56:57], s[56:57], s[54:55]
	v_add_co_u32 v37, vcc_lo, v30, v43
	v_cvt_f32_u32_e32 v5, s56
	v_cvt_f32_u32_e32 v36, s57
	s_sub_u32 s65, 0, s56
	s_subb_u32 s66, 0, s57
	v_add_co_ci_u32_e64 v39, null, v31, v43, vcc_lo
	v_fmac_f32_e32 v5, 0x4f800000, v36
	v_xor_b32_e32 v44, v39, v43
	v_rcp_f32_e32 v5, v5
	v_mul_f32_e32 v5, 0x5f7ffffc, v5
	v_mul_f32_e32 v36, 0x2f800000, v5
	v_trunc_f32_e32 v36, v36
	v_fmac_f32_e32 v5, 0xcf800000, v36
	v_cvt_u32_f32_e32 v36, v36
	v_cvt_u32_f32_e32 v5, v5
	v_readfirstlane_b32 s2, v36
	v_readfirstlane_b32 s55, v5
	s_mul_i32 s67, s65, s2
	v_xor_b32_e32 v5, v37, v43
	s_mul_hi_u32 s69, s65, s55
	s_mul_i32 s68, s66, s55
	s_add_i32 s67, s69, s67
	s_mul_i32 s70, s65, s55
	s_add_i32 s67, s67, s68
	s_mul_hi_u32 s69, s55, s70
	s_mul_i32 s72, s55, s67
	s_mul_hi_u32 s71, s2, s70
	s_mul_i32 s68, s2, s70
	s_mul_hi_u32 s70, s55, s67
	s_add_u32 s69, s69, s72
	s_addc_u32 s70, 0, s70
	s_mul_hi_u32 s73, s2, s67
	s_add_u32 s68, s69, s68
	s_mul_i32 s67, s2, s67
	s_addc_u32 s68, s70, s71
	s_addc_u32 s69, s73, 0
	s_add_u32 s67, s68, s67
	s_addc_u32 s68, 0, s69
	s_add_u32 s55, s55, s67
	s_cselect_b32 s67, -1, 0
	s_mul_hi_u32 s69, s65, s55
	s_cmp_lg_u32 s67, 0
	s_mul_i32 s67, s65, s55
	s_addc_u32 s2, s2, s68
	s_mul_i32 s66, s66, s55
	s_mul_i32 s65, s65, s2
	s_mul_hi_u32 s68, s55, s67
	s_add_i32 s65, s69, s65
	s_mul_hi_u32 s69, s2, s67
	s_add_i32 s65, s65, s66
	s_mul_i32 s66, s2, s67
	s_mul_i32 s71, s55, s65
	s_mul_hi_u32 s70, s55, s65
	s_add_u32 s68, s68, s71
	s_addc_u32 s70, 0, s70
	s_mul_hi_u32 s67, s2, s65
	s_add_u32 s66, s68, s66
	s_mul_i32 s65, s2, s65
	s_addc_u32 s66, s70, s69
	s_addc_u32 s67, s67, 0
	s_add_u32 s65, s66, s65
	s_addc_u32 s66, 0, s67
	s_add_u32 s55, s55, s65
	s_cselect_b32 s65, -1, 0
	v_mul_hi_u32 v45, v5, s55
	s_cmp_lg_u32 s65, 0
	v_mad_u64_u32 v[39:40], null, v44, s55, 0
	s_addc_u32 s2, s2, s66
	v_mad_u64_u32 v[36:37], null, v5, s2, 0
	v_mad_u64_u32 v[41:42], null, v44, s2, 0
	v_add_co_u32 v36, vcc_lo, v45, v36
	v_add_co_ci_u32_e64 v37, null, 0, v37, vcc_lo
	v_add_co_u32 v36, vcc_lo, v36, v39
	v_add_co_ci_u32_e32 v36, vcc_lo, v37, v40, vcc_lo
	v_add_co_ci_u32_e32 v37, vcc_lo, 0, v42, vcc_lo
	v_add_co_u32 v39, vcc_lo, v36, v41
	v_add_co_ci_u32_e64 v40, null, 0, v37, vcc_lo
	v_mul_lo_u32 v41, s57, v39
	v_mad_u64_u32 v[36:37], null, s56, v39, 0
	v_mul_lo_u32 v42, s56, v40
	v_sub_co_u32 v5, vcc_lo, v5, v36
	v_add3_u32 v37, v37, v42, v41
	v_sub_nc_u32_e32 v41, v44, v37
	v_sub_co_ci_u32_e64 v37, null, v44, v37, vcc_lo
	v_subrev_co_ci_u32_e64 v36, null, s57, v41, vcc_lo
	v_add_co_u32 v41, s2, v39, 2
	v_add_co_ci_u32_e64 v42, null, 0, v40, s2
	v_sub_co_u32 v45, s2, v5, s56
	v_subrev_co_ci_u32_e64 v36, null, 0, v36, s2
	v_cmp_le_u32_e32 vcc_lo, s56, v45
	v_cndmask_b32_e64 v44, 0, -1, vcc_lo
	v_cmp_le_u32_e32 vcc_lo, s57, v36
	v_cndmask_b32_e64 v45, 0, -1, vcc_lo
	;; [unrolled: 2-line block ×4, first 2 shown]
	v_cmp_eq_u32_e32 vcc_lo, s57, v36
	v_cndmask_b32_e32 v36, v45, v44, vcc_lo
	v_add_co_u32 v44, vcc_lo, v39, 1
	v_add_co_ci_u32_e64 v45, null, 0, v40, vcc_lo
	v_cmp_eq_u32_e32 vcc_lo, s57, v37
	v_xor_b32_e32 v37, s54, v43
	v_cndmask_b32_e32 v5, v46, v5, vcc_lo
	v_cmp_ne_u32_e32 vcc_lo, 0, v36
	v_cmp_ne_u32_e64 s2, 0, v5
	v_cndmask_b32_e32 v5, v44, v41, vcc_lo
	v_cndmask_b32_e32 v36, v45, v42, vcc_lo
	v_cndmask_b32_e64 v5, v39, v5, s2
	v_cndmask_b32_e64 v36, v40, v36, s2
	v_xor_b32_e32 v5, v5, v37
	v_xor_b32_e32 v39, v36, v37
	v_sub_co_u32 v36, vcc_lo, v5, v37
	v_sub_co_ci_u32_e64 v37, null, v39, v37, vcc_lo
.LBB2_55:                               ;   in Loop: Header=BB2_52 Depth=3
	s_andn2_saveexec_b32 s2, s64
	s_cbranch_execz .LBB2_57
; %bb.56:                               ;   in Loop: Header=BB2_52 Depth=3
	v_cvt_f32_u32_e32 v5, s46
	s_sub_i32 s54, 0, s46
	v_rcp_iflag_f32_e32 v5, v5
	v_mul_f32_e32 v5, 0x4f7ffffe, v5
	v_cvt_u32_f32_e32 v5, v5
	v_mul_lo_u32 v36, s54, v5
	v_mul_hi_u32 v36, v5, v36
	v_add_nc_u32_e32 v5, v5, v36
	v_mul_hi_u32 v5, v30, v5
	v_mul_lo_u32 v36, v5, s46
	v_add_nc_u32_e32 v37, 1, v5
	v_sub_nc_u32_e32 v36, v30, v36
	v_subrev_nc_u32_e32 v39, s46, v36
	v_cmp_le_u32_e32 vcc_lo, s46, v36
	v_cndmask_b32_e32 v36, v36, v39, vcc_lo
	v_cndmask_b32_e32 v5, v5, v37, vcc_lo
	v_cmp_le_u32_e32 vcc_lo, s46, v36
	v_add_nc_u32_e32 v37, 1, v5
	v_cndmask_b32_e32 v36, v5, v37, vcc_lo
	v_mov_b32_e32 v37, v4
.LBB2_57:                               ;   in Loop: Header=BB2_52 Depth=3
	s_or_b32 exec_lo, exec_lo, s2
	v_mul_lo_u32 v5, v37, s46
	v_mul_lo_u32 v41, v36, s47
	v_mad_u64_u32 v[39:40], null, v36, s46, 0
	s_mov_b32 s2, exec_lo
	v_add3_u32 v5, v40, v41, v5
	v_sub_co_u32 v39, vcc_lo, v30, v39
	v_sub_co_ci_u32_e64 v40, null, v31, v5, vcc_lo
	v_cmpx_eq_u64_e32 0, v[39:40]
	s_cbranch_execz .LBB2_50
; %bb.58:                               ;   in Loop: Header=BB2_52 Depth=3
	v_add_co_u32 v5, vcc_lo, v28, v36
	v_add_co_ci_u32_e64 v36, null, v29, v37, vcc_lo
	v_mul_lo_u32 v39, v5, s49
	v_mul_lo_u32 v40, v36, s48
	v_mad_u64_u32 v[36:37], null, v5, s48, v[22:23]
	v_add3_u32 v5, v40, v37, v39
	v_mul_lo_u32 v39, s29, v36
	v_mad_u64_u32 v[36:37], null, s28, v36, v[32:33]
	v_mul_lo_u32 v5, s28, v5
	v_add3_u32 v37, v39, v37, v5
	global_load_dwordx4 v[39:42], v[36:37], off
	s_waitcnt vmcnt(0)
	v_add_f64 v[0:1], v[0:1], v[39:40]
	v_add_f64 v[2:3], v[2:3], v[41:42]
	s_branch .LBB2_50
.LBB2_59:
	s_endpgm
	.section	.rodata,"a",@progbits
	.p2align	6, 0x0
	.amdhsa_kernel _ZN2at6native21col2im_batched_kernelIN3c107complexIdEEEEvlPKT_llllllllllllllPS5_l
		.amdhsa_group_segment_fixed_size 0
		.amdhsa_private_segment_fixed_size 0
		.amdhsa_kernarg_size 400
		.amdhsa_user_sgpr_count 6
		.amdhsa_user_sgpr_private_segment_buffer 1
		.amdhsa_user_sgpr_dispatch_ptr 0
		.amdhsa_user_sgpr_queue_ptr 0
		.amdhsa_user_sgpr_kernarg_segment_ptr 1
		.amdhsa_user_sgpr_dispatch_id 0
		.amdhsa_user_sgpr_flat_scratch_init 0
		.amdhsa_user_sgpr_private_segment_size 0
		.amdhsa_wavefront_size32 1
		.amdhsa_uses_dynamic_stack 0
		.amdhsa_system_sgpr_private_segment_wavefront_offset 0
		.amdhsa_system_sgpr_workgroup_id_x 1
		.amdhsa_system_sgpr_workgroup_id_y 0
		.amdhsa_system_sgpr_workgroup_id_z 0
		.amdhsa_system_sgpr_workgroup_info 0
		.amdhsa_system_vgpr_workitem_id 0
		.amdhsa_next_free_vgpr 47
		.amdhsa_next_free_sgpr 74
		.amdhsa_reserve_vcc 1
		.amdhsa_reserve_flat_scratch 0
		.amdhsa_float_round_mode_32 0
		.amdhsa_float_round_mode_16_64 0
		.amdhsa_float_denorm_mode_32 3
		.amdhsa_float_denorm_mode_16_64 3
		.amdhsa_dx10_clamp 1
		.amdhsa_ieee_mode 1
		.amdhsa_fp16_overflow 0
		.amdhsa_workgroup_processor_mode 1
		.amdhsa_memory_ordered 1
		.amdhsa_forward_progress 1
		.amdhsa_shared_vgpr_count 0
		.amdhsa_exception_fp_ieee_invalid_op 0
		.amdhsa_exception_fp_denorm_src 0
		.amdhsa_exception_fp_ieee_div_zero 0
		.amdhsa_exception_fp_ieee_overflow 0
		.amdhsa_exception_fp_ieee_underflow 0
		.amdhsa_exception_fp_ieee_inexact 0
		.amdhsa_exception_int_div_zero 0
	.end_amdhsa_kernel
	.section	.text._ZN2at6native21col2im_batched_kernelIN3c107complexIdEEEEvlPKT_llllllllllllllPS5_l,"axG",@progbits,_ZN2at6native21col2im_batched_kernelIN3c107complexIdEEEEvlPKT_llllllllllllllPS5_l,comdat
.Lfunc_end2:
	.size	_ZN2at6native21col2im_batched_kernelIN3c107complexIdEEEEvlPKT_llllllllllllllPS5_l, .Lfunc_end2-_ZN2at6native21col2im_batched_kernelIN3c107complexIdEEEEvlPKT_llllllllllllllPS5_l
                                        ; -- End function
	.set _ZN2at6native21col2im_batched_kernelIN3c107complexIdEEEEvlPKT_llllllllllllllPS5_l.num_vgpr, 47
	.set _ZN2at6native21col2im_batched_kernelIN3c107complexIdEEEEvlPKT_llllllllllllllPS5_l.num_agpr, 0
	.set _ZN2at6native21col2im_batched_kernelIN3c107complexIdEEEEvlPKT_llllllllllllllPS5_l.numbered_sgpr, 74
	.set _ZN2at6native21col2im_batched_kernelIN3c107complexIdEEEEvlPKT_llllllllllllllPS5_l.num_named_barrier, 0
	.set _ZN2at6native21col2im_batched_kernelIN3c107complexIdEEEEvlPKT_llllllllllllllPS5_l.private_seg_size, 0
	.set _ZN2at6native21col2im_batched_kernelIN3c107complexIdEEEEvlPKT_llllllllllllllPS5_l.uses_vcc, 1
	.set _ZN2at6native21col2im_batched_kernelIN3c107complexIdEEEEvlPKT_llllllllllllllPS5_l.uses_flat_scratch, 0
	.set _ZN2at6native21col2im_batched_kernelIN3c107complexIdEEEEvlPKT_llllllllllllllPS5_l.has_dyn_sized_stack, 0
	.set _ZN2at6native21col2im_batched_kernelIN3c107complexIdEEEEvlPKT_llllllllllllllPS5_l.has_recursion, 0
	.set _ZN2at6native21col2im_batched_kernelIN3c107complexIdEEEEvlPKT_llllllllllllllPS5_l.has_indirect_call, 0
	.section	.AMDGPU.csdata,"",@progbits
; Kernel info:
; codeLenInByte = 8996
; TotalNumSgprs: 76
; NumVgprs: 47
; ScratchSize: 0
; MemoryBound: 0
; FloatMode: 240
; IeeeMode: 1
; LDSByteSize: 0 bytes/workgroup (compile time only)
; SGPRBlocks: 0
; VGPRBlocks: 5
; NumSGPRsForWavesPerEU: 76
; NumVGPRsForWavesPerEU: 47
; Occupancy: 16
; WaveLimiterHint : 0
; COMPUTE_PGM_RSRC2:SCRATCH_EN: 0
; COMPUTE_PGM_RSRC2:USER_SGPR: 6
; COMPUTE_PGM_RSRC2:TRAP_HANDLER: 0
; COMPUTE_PGM_RSRC2:TGID_X_EN: 1
; COMPUTE_PGM_RSRC2:TGID_Y_EN: 0
; COMPUTE_PGM_RSRC2:TGID_Z_EN: 0
; COMPUTE_PGM_RSRC2:TIDIG_COMP_CNT: 0
	.section	.text._ZN2at6native21col2im_batched_kernelIN3c107complexIfEEEEvlPKT_llllllllllllllPS5_l,"axG",@progbits,_ZN2at6native21col2im_batched_kernelIN3c107complexIfEEEEvlPKT_llllllllllllllPS5_l,comdat
	.protected	_ZN2at6native21col2im_batched_kernelIN3c107complexIfEEEEvlPKT_llllllllllllllPS5_l ; -- Begin function _ZN2at6native21col2im_batched_kernelIN3c107complexIfEEEEvlPKT_llllllllllllllPS5_l
	.globl	_ZN2at6native21col2im_batched_kernelIN3c107complexIfEEEEvlPKT_llllllllllllllPS5_l
	.p2align	8
	.type	_ZN2at6native21col2im_batched_kernelIN3c107complexIfEEEEvlPKT_llllllllllllllPS5_l,@function
_ZN2at6native21col2im_batched_kernelIN3c107complexIfEEEEvlPKT_llllllllllllllPS5_l: ; @_ZN2at6native21col2im_batched_kernelIN3c107complexIfEEEEvlPKT_llllllllllllllPS5_l
; %bb.0:
	s_clause 0x1
	s_load_dwordx16 s[8:23], s[4:5], 0x0
	s_load_dword s2, s[4:5], 0x9c
	v_mov_b32_e32 v2, 0
	v_mov_b32_e32 v1, v2
	s_waitcnt lgkmcnt(0)
	s_mul_i32 s0, s14, s9
	s_mul_hi_u32 s1, s14, s8
	s_mul_i32 s3, s15, s8
	s_add_i32 s0, s1, s0
	s_mul_i32 s14, s14, s8
	s_add_i32 s15, s0, s3
	s_add_u32 s0, s4, 0x90
	s_addc_u32 s1, s5, 0
	s_and_b32 s2, s2, 0xffff
	s_mov_b32 s3, exec_lo
	v_mad_u64_u32 v[0:1], null, s2, s6, v[0:1]
	v_cmpx_gt_i64_e64 s[14:15], v[0:1]
	s_cbranch_execz .LBB3_59
; %bb.1:
	s_load_dwordx16 s[36:51], s[4:5], 0x40
	s_load_dword s0, s[0:1], 0x0
	v_cvt_f32_u32_e32 v3, s8
	s_mul_i32 s1, s18, s17
	s_mul_hi_u32 s3, s18, s16
	s_mul_i32 s24, s19, s16
	s_add_i32 s1, s3, s1
	s_load_dwordx4 s[4:7], s[4:5], 0x80
	v_rcp_iflag_f32_e32 v3, v3
	s_add_i32 s59, s1, s24
	s_add_u32 s1, s22, -1
	s_addc_u32 s3, s23, -1
	s_mul_i32 s33, s18, s16
	s_mov_b32 s58, 0
	v_mul_f32_e32 v3, 0x4f7ffffe, v3
	s_waitcnt lgkmcnt(0)
	s_mul_i32 s3, s46, s3
	s_mul_hi_u32 s25, s46, s1
	s_mul_i32 s26, s47, s1
	s_mul_i32 s60, s0, s2
	s_add_i32 s0, s25, s3
	s_mul_i32 s24, s46, s1
	s_add_i32 s25, s0, s26
	s_add_u32 s0, s20, -1
	s_addc_u32 s1, s21, -1
	s_mul_hi_u32 s2, s44, s0
	s_mul_i32 s1, s44, s1
	s_mul_i32 s3, s45, s0
	s_add_i32 s1, s2, s1
	v_cvt_u32_f32_e32 v36, v3
	s_mul_i32 s30, s44, s0
	s_add_i32 s31, s1, s3
	s_not_b64 s[26:27], s[24:25]
	s_lshl_b64 s[28:29], s[50:51], 3
	s_lshl_b64 s[12:13], s[12:13], 3
	s_not_b64 s[34:35], s[30:31]
	s_ashr_i32 s52, s9, 31
	s_branch .LBB3_4
.LBB3_2:                                ;   in Loop: Header=BB3_4 Depth=1
	s_or_b32 exec_lo, exec_lo, s61
.LBB3_3:                                ;   in Loop: Header=BB3_4 Depth=1
	s_or_b32 exec_lo, exec_lo, s53
	v_mul_lo_u32 v5, v5, s6
	v_mul_lo_u32 v8, v4, s7
	v_mad_u64_u32 v[3:4], null, v4, s6, 0
	v_add_co_u32 v0, vcc_lo, v0, s60
	v_add_co_ci_u32_e64 v1, null, 0, v1, vcc_lo
	v_add3_u32 v4, v4, v8, v5
	v_lshlrev_b64 v[5:6], 3, v[6:7]
	v_lshlrev_b64 v[3:4], 3, v[3:4]
	v_add_co_u32 v3, vcc_lo, s4, v3
	v_add_co_ci_u32_e64 v4, null, s5, v4, vcc_lo
	v_cmp_le_i64_e32 vcc_lo, s[14:15], v[0:1]
	v_add_co_u32 v3, s0, v3, v5
	v_add_co_ci_u32_e64 v4, null, v4, v6, s0
	s_or_b32 s58, vcc_lo, s58
	global_store_dwordx2 v[3:4], v[22:23], off
	s_andn2_b32 exec_lo, exec_lo, s58
	s_cbranch_execz .LBB3_59
.LBB3_4:                                ; =>This Loop Header: Depth=1
                                        ;     Child Loop BB3_44 Depth 2
                                        ;       Child Loop BB3_52 Depth 3
	v_or_b32_e32 v3, s9, v1
                                        ; implicit-def: $vgpr4_vgpr5
	s_mov_b32 s0, exec_lo
	v_cmpx_ne_u64_e32 0, v[2:3]
	s_xor_b32 s1, exec_lo, s0
	s_cbranch_execz .LBB3_6
; %bb.5:                                ;   in Loop: Header=BB3_4 Depth=1
	s_add_u32 s2, s8, s52
	s_mov_b32 s53, s52
	s_addc_u32 s3, s9, s52
	v_ashrrev_i32_e32 v9, 31, v1
	s_xor_b64 s[2:3], s[2:3], s[52:53]
	v_cvt_f32_u32_e32 v3, s2
	v_cvt_f32_u32_e32 v4, s3
	s_sub_u32 s0, 0, s2
	s_subb_u32 s55, 0, s3
	v_add_co_u32 v5, vcc_lo, v0, v9
	v_fmac_f32_e32 v3, 0x4f800000, v4
	v_xor_b32_e32 v10, v5, v9
	v_rcp_f32_e32 v3, v3
	v_mul_f32_e32 v3, 0x5f7ffffc, v3
	v_mul_f32_e32 v4, 0x2f800000, v3
	v_trunc_f32_e32 v4, v4
	v_fmac_f32_e32 v3, 0xcf800000, v4
	v_cvt_u32_f32_e32 v4, v4
	v_cvt_u32_f32_e32 v3, v3
	v_readfirstlane_b32 s53, v4
	v_readfirstlane_b32 s54, v3
	s_mul_i32 s56, s0, s53
	v_add_co_ci_u32_e64 v3, null, v1, v9, vcc_lo
	s_mul_hi_u32 s61, s0, s54
	s_mul_i32 s57, s55, s54
	s_add_i32 s56, s61, s56
	s_mul_i32 s62, s0, s54
	s_add_i32 s56, s56, s57
	s_mul_hi_u32 s61, s54, s62
	s_mul_i32 s64, s54, s56
	s_mul_hi_u32 s63, s53, s62
	s_mul_i32 s57, s53, s62
	s_mul_hi_u32 s62, s54, s56
	s_add_u32 s61, s61, s64
	s_addc_u32 s62, 0, s62
	s_mul_hi_u32 s65, s53, s56
	s_add_u32 s57, s61, s57
	s_mul_i32 s56, s53, s56
	s_addc_u32 s57, s62, s63
	s_addc_u32 s61, s65, 0
	s_add_u32 s56, s57, s56
	s_addc_u32 s57, 0, s61
	s_add_u32 s54, s54, s56
	s_cselect_b32 s56, -1, 0
	s_mul_hi_u32 s61, s0, s54
	s_cmp_lg_u32 s56, 0
	s_mul_i32 s56, s0, s54
	s_addc_u32 s53, s53, s57
	s_mul_i32 s55, s55, s54
	s_mul_i32 s0, s0, s53
	s_mul_hi_u32 s57, s54, s56
	s_add_i32 s0, s61, s0
	s_mul_hi_u32 s61, s53, s56
	s_add_i32 s0, s0, s55
	s_mul_i32 s55, s53, s56
	s_mul_i32 s63, s54, s0
	s_mul_hi_u32 s62, s54, s0
	s_add_u32 s57, s57, s63
	s_addc_u32 s62, 0, s62
	s_mul_hi_u32 s56, s53, s0
	s_add_u32 s55, s57, s55
	s_mul_i32 s0, s53, s0
	s_addc_u32 s55, s62, s61
	s_addc_u32 s56, s56, 0
	s_add_u32 s0, s55, s0
	s_addc_u32 s55, 0, s56
	s_add_u32 s0, s54, s0
	s_cselect_b32 s54, -1, 0
	v_xor_b32_e32 v11, v3, v9
	s_cmp_lg_u32 s54, 0
	v_mul_hi_u32 v12, v10, s0
	s_addc_u32 s53, s53, s55
	v_mad_u64_u32 v[3:4], null, v10, s53, 0
	v_mad_u64_u32 v[5:6], null, v11, s0, 0
	;; [unrolled: 1-line block ×3, first 2 shown]
	v_add_co_u32 v3, vcc_lo, v12, v3
	v_add_co_ci_u32_e64 v4, null, 0, v4, vcc_lo
	v_add_co_u32 v3, vcc_lo, v3, v5
	v_add_co_ci_u32_e32 v3, vcc_lo, v4, v6, vcc_lo
	v_add_co_ci_u32_e32 v4, vcc_lo, 0, v8, vcc_lo
	v_add_co_u32 v5, vcc_lo, v3, v7
	v_add_co_ci_u32_e64 v6, null, 0, v4, vcc_lo
	v_mul_lo_u32 v7, s3, v5
	v_mad_u64_u32 v[3:4], null, s2, v5, 0
	v_mul_lo_u32 v8, s2, v6
	v_sub_co_u32 v3, vcc_lo, v10, v3
	v_add3_u32 v4, v4, v8, v7
	v_add_co_u32 v8, s0, v5, 2
	v_add_co_ci_u32_e64 v10, null, 0, v6, s0
	v_sub_nc_u32_e32 v7, v11, v4
	v_sub_co_u32 v12, s0, v3, s2
	v_sub_co_ci_u32_e64 v4, null, v11, v4, vcc_lo
	v_subrev_co_ci_u32_e64 v7, null, s3, v7, vcc_lo
	v_cmp_le_u32_e32 vcc_lo, s2, v12
	v_subrev_co_ci_u32_e64 v7, null, 0, v7, s0
	v_cndmask_b32_e64 v11, 0, -1, vcc_lo
	v_cmp_le_u32_e32 vcc_lo, s3, v7
	v_cndmask_b32_e64 v12, 0, -1, vcc_lo
	v_cmp_le_u32_e32 vcc_lo, s2, v3
	;; [unrolled: 2-line block ×3, first 2 shown]
	v_cndmask_b32_e64 v13, 0, -1, vcc_lo
	v_cmp_eq_u32_e32 vcc_lo, s3, v7
	v_cndmask_b32_e32 v7, v12, v11, vcc_lo
	v_add_co_u32 v11, vcc_lo, v5, 1
	v_add_co_ci_u32_e64 v12, null, 0, v6, vcc_lo
	v_cmp_eq_u32_e32 vcc_lo, s3, v4
	v_cndmask_b32_e32 v3, v13, v3, vcc_lo
	v_cmp_ne_u32_e32 vcc_lo, 0, v7
	v_xor_b32_e32 v7, s52, v9
	v_cmp_ne_u32_e64 s0, 0, v3
	v_cndmask_b32_e32 v3, v11, v8, vcc_lo
	v_cndmask_b32_e32 v4, v12, v10, vcc_lo
	v_cndmask_b32_e64 v3, v5, v3, s0
	v_cndmask_b32_e64 v4, v6, v4, s0
	v_xor_b32_e32 v3, v3, v7
	v_xor_b32_e32 v5, v4, v7
	v_sub_co_u32 v4, vcc_lo, v3, v7
	v_sub_co_ci_u32_e64 v5, null, v5, v7, vcc_lo
.LBB3_6:                                ;   in Loop: Header=BB3_4 Depth=1
	s_andn2_saveexec_b32 s0, s1
	s_cbranch_execz .LBB3_8
; %bb.7:                                ;   in Loop: Header=BB3_4 Depth=1
	s_sub_i32 s1, 0, s8
	v_mul_lo_u32 v3, s1, v36
	v_mul_hi_u32 v3, v36, v3
	v_add_nc_u32_e32 v3, v36, v3
	v_mul_hi_u32 v3, v0, v3
	v_mul_lo_u32 v4, v3, s8
	v_add_nc_u32_e32 v5, 1, v3
	v_sub_nc_u32_e32 v4, v0, v4
	v_subrev_nc_u32_e32 v6, s8, v4
	v_cmp_le_u32_e32 vcc_lo, s8, v4
	v_cndmask_b32_e32 v4, v4, v6, vcc_lo
	v_cndmask_b32_e32 v3, v3, v5, vcc_lo
	v_cmp_le_u32_e32 vcc_lo, s8, v4
	v_add_nc_u32_e32 v5, 1, v3
	v_cndmask_b32_e32 v4, v3, v5, vcc_lo
	v_mov_b32_e32 v5, v2
.LBB3_8:                                ;   in Loop: Header=BB3_4 Depth=1
	s_or_b32 exec_lo, exec_lo, s0
	v_mul_lo_u32 v3, v5, s8
	v_mul_lo_u32 v6, v4, s9
	v_mad_u64_u32 v[8:9], null, v4, s8, 0
                                        ; implicit-def: $vgpr10_vgpr11
	s_mov_b32 s0, exec_lo
	v_add3_u32 v9, v9, v6, v3
	v_sub_co_u32 v6, vcc_lo, v0, v8
	v_sub_co_ci_u32_e64 v7, null, v1, v9, vcc_lo
	v_or_b32_e32 v3, s19, v7
	v_ashrrev_i32_e32 v14, 31, v7
	v_cmpx_ne_u64_e32 0, v[2:3]
	s_xor_b32 s1, exec_lo, s0
	s_cbranch_execz .LBB3_10
; %bb.9:                                ;   in Loop: Header=BB3_4 Depth=1
	s_ashr_i32 s2, s19, 31
	v_add_co_u32 v11, vcc_lo, v6, v14
	s_add_u32 s54, s18, s2
	s_mov_b32 s3, s2
	s_addc_u32 s55, s19, s2
	v_add_co_ci_u32_e64 v12, null, v7, v14, vcc_lo
	s_xor_b64 s[54:55], s[54:55], s[2:3]
	v_cvt_f32_u32_e32 v3, s54
	v_cvt_f32_u32_e32 v10, s55
	s_sub_u32 s53, 0, s54
	s_subb_u32 s56, 0, s55
	v_xor_b32_e32 v17, v12, v14
	v_fmac_f32_e32 v3, 0x4f800000, v10
	v_rcp_f32_e32 v3, v3
	v_mul_f32_e32 v3, 0x5f7ffffc, v3
	v_mul_f32_e32 v10, 0x2f800000, v3
	v_trunc_f32_e32 v10, v10
	v_fmac_f32_e32 v3, 0xcf800000, v10
	v_cvt_u32_f32_e32 v10, v10
	v_cvt_u32_f32_e32 v3, v3
	v_readfirstlane_b32 s0, v10
	v_readfirstlane_b32 s3, v3
	s_mul_i32 s57, s53, s0
	v_xor_b32_e32 v3, v11, v14
	s_mul_hi_u32 s62, s53, s3
	s_mul_i32 s61, s56, s3
	s_add_i32 s57, s62, s57
	s_mul_i32 s63, s53, s3
	s_add_i32 s57, s57, s61
	s_mul_hi_u32 s62, s3, s63
	s_mul_i32 s65, s3, s57
	s_mul_hi_u32 s64, s0, s63
	s_mul_i32 s61, s0, s63
	s_mul_hi_u32 s63, s3, s57
	s_add_u32 s62, s62, s65
	s_addc_u32 s63, 0, s63
	s_mul_hi_u32 s66, s0, s57
	s_add_u32 s61, s62, s61
	s_mul_i32 s57, s0, s57
	s_addc_u32 s61, s63, s64
	s_addc_u32 s62, s66, 0
	s_add_u32 s57, s61, s57
	s_addc_u32 s61, 0, s62
	s_add_u32 s3, s3, s57
	s_cselect_b32 s57, -1, 0
	s_mul_hi_u32 s62, s53, s3
	s_cmp_lg_u32 s57, 0
	s_mul_i32 s57, s53, s3
	s_addc_u32 s0, s0, s61
	s_mul_i32 s56, s56, s3
	s_mul_i32 s53, s53, s0
	s_mul_hi_u32 s61, s3, s57
	s_add_i32 s53, s62, s53
	s_mul_hi_u32 s62, s0, s57
	s_add_i32 s53, s53, s56
	s_mul_i32 s56, s0, s57
	s_mul_i32 s64, s3, s53
	s_mul_hi_u32 s63, s3, s53
	s_add_u32 s61, s61, s64
	s_addc_u32 s63, 0, s63
	s_mul_hi_u32 s57, s0, s53
	s_add_u32 s56, s61, s56
	s_mul_i32 s53, s0, s53
	s_addc_u32 s56, s63, s62
	s_addc_u32 s57, s57, 0
	s_add_u32 s53, s56, s53
	s_addc_u32 s56, 0, s57
	s_add_u32 s3, s3, s53
	s_cselect_b32 s53, -1, 0
	v_mul_hi_u32 v18, v3, s3
	s_cmp_lg_u32 s53, 0
	v_mad_u64_u32 v[12:13], null, v17, s3, 0
	s_addc_u32 s0, s0, s56
	v_mad_u64_u32 v[10:11], null, v3, s0, 0
	v_mad_u64_u32 v[15:16], null, v17, s0, 0
	v_add_co_u32 v10, vcc_lo, v18, v10
	v_add_co_ci_u32_e64 v11, null, 0, v11, vcc_lo
	v_add_co_u32 v10, vcc_lo, v10, v12
	v_add_co_ci_u32_e32 v10, vcc_lo, v11, v13, vcc_lo
	v_add_co_ci_u32_e32 v11, vcc_lo, 0, v16, vcc_lo
	v_add_co_u32 v12, vcc_lo, v10, v15
	v_add_co_ci_u32_e64 v13, null, 0, v11, vcc_lo
	v_mul_lo_u32 v15, s55, v12
	v_mad_u64_u32 v[10:11], null, s54, v12, 0
	v_mul_lo_u32 v16, s54, v13
	v_sub_co_u32 v3, vcc_lo, v3, v10
	v_add3_u32 v11, v11, v16, v15
	v_sub_nc_u32_e32 v15, v17, v11
	v_sub_co_ci_u32_e64 v11, null, v17, v11, vcc_lo
	v_subrev_co_ci_u32_e64 v10, null, s55, v15, vcc_lo
	v_add_co_u32 v15, s0, v12, 2
	v_add_co_ci_u32_e64 v16, null, 0, v13, s0
	v_sub_co_u32 v18, s0, v3, s54
	v_subrev_co_ci_u32_e64 v10, null, 0, v10, s0
	v_cmp_le_u32_e32 vcc_lo, s54, v18
	v_cndmask_b32_e64 v17, 0, -1, vcc_lo
	v_cmp_le_u32_e32 vcc_lo, s55, v10
	v_cndmask_b32_e64 v18, 0, -1, vcc_lo
	;; [unrolled: 2-line block ×4, first 2 shown]
	v_cmp_eq_u32_e32 vcc_lo, s55, v10
	v_cndmask_b32_e32 v10, v18, v17, vcc_lo
	v_add_co_u32 v17, vcc_lo, v12, 1
	v_add_co_ci_u32_e64 v18, null, 0, v13, vcc_lo
	v_cmp_eq_u32_e32 vcc_lo, s55, v11
	v_xor_b32_e32 v11, s2, v14
	v_cndmask_b32_e32 v3, v19, v3, vcc_lo
	v_cmp_ne_u32_e32 vcc_lo, 0, v10
	v_cmp_ne_u32_e64 s0, 0, v3
	v_cndmask_b32_e32 v3, v17, v15, vcc_lo
	v_cndmask_b32_e32 v10, v18, v16, vcc_lo
	v_cndmask_b32_e64 v3, v12, v3, s0
	v_cndmask_b32_e64 v10, v13, v10, s0
	v_xor_b32_e32 v3, v3, v11
	v_xor_b32_e32 v12, v10, v11
	v_sub_co_u32 v10, vcc_lo, v3, v11
	v_sub_co_ci_u32_e64 v11, null, v12, v11, vcc_lo
.LBB3_10:                               ;   in Loop: Header=BB3_4 Depth=1
	s_andn2_saveexec_b32 s0, s1
	s_cbranch_execz .LBB3_12
; %bb.11:                               ;   in Loop: Header=BB3_4 Depth=1
	v_cvt_f32_u32_e32 v3, s18
	s_sub_i32 s1, 0, s18
	v_rcp_iflag_f32_e32 v3, v3
	v_mul_f32_e32 v3, 0x4f7ffffe, v3
	v_cvt_u32_f32_e32 v3, v3
	v_mul_lo_u32 v10, s1, v3
	v_mul_hi_u32 v10, v3, v10
	v_add_nc_u32_e32 v3, v3, v10
	v_mul_hi_u32 v3, v6, v3
	v_mul_lo_u32 v10, v3, s18
	v_add_nc_u32_e32 v11, 1, v3
	v_sub_nc_u32_e32 v10, v6, v10
	v_subrev_nc_u32_e32 v12, s18, v10
	v_cmp_le_u32_e32 vcc_lo, s18, v10
	v_cndmask_b32_e32 v10, v10, v12, vcc_lo
	v_cndmask_b32_e32 v3, v3, v11, vcc_lo
	v_cmp_le_u32_e32 vcc_lo, s18, v10
	v_add_nc_u32_e32 v11, 1, v3
	v_cndmask_b32_e32 v10, v3, v11, vcc_lo
	v_mov_b32_e32 v11, v2
.LBB3_12:                               ;   in Loop: Header=BB3_4 Depth=1
	s_or_b32 exec_lo, exec_lo, s0
	v_or_b32_e32 v3, s17, v11
                                        ; implicit-def: $vgpr12_vgpr13
	s_mov_b32 s0, exec_lo
	v_cmpx_ne_u64_e32 0, v[2:3]
	s_xor_b32 s1, exec_lo, s0
	s_cbranch_execz .LBB3_14
; %bb.13:                               ;   in Loop: Header=BB3_4 Depth=1
	s_ashr_i32 s2, s17, 31
	v_ashrrev_i32_e32 v19, 31, v11
	s_add_u32 s54, s16, s2
	s_mov_b32 s3, s2
	s_addc_u32 s55, s17, s2
	s_xor_b64 s[2:3], s[54:55], s[2:3]
	v_add_co_u32 v13, vcc_lo, v10, v19
	v_cvt_f32_u32_e32 v3, s2
	v_cvt_f32_u32_e32 v12, s3
	s_sub_u32 s54, 0, s2
	s_subb_u32 s55, 0, s3
	v_add_co_ci_u32_e64 v15, null, v11, v19, vcc_lo
	v_fmac_f32_e32 v3, 0x4f800000, v12
	v_xor_b32_e32 v20, v15, v19
	v_rcp_f32_e32 v3, v3
	v_mul_f32_e32 v3, 0x5f7ffffc, v3
	v_mul_f32_e32 v12, 0x2f800000, v3
	v_trunc_f32_e32 v12, v12
	v_fmac_f32_e32 v3, 0xcf800000, v12
	v_cvt_u32_f32_e32 v12, v12
	v_cvt_u32_f32_e32 v3, v3
	v_readfirstlane_b32 s0, v12
	v_readfirstlane_b32 s53, v3
	s_mul_i32 s56, s54, s0
	v_xor_b32_e32 v3, v13, v19
	s_mul_hi_u32 s61, s54, s53
	s_mul_i32 s57, s55, s53
	s_add_i32 s56, s61, s56
	s_mul_i32 s62, s54, s53
	s_add_i32 s56, s56, s57
	s_mul_hi_u32 s61, s53, s62
	s_mul_i32 s64, s53, s56
	s_mul_hi_u32 s63, s0, s62
	s_mul_i32 s57, s0, s62
	s_mul_hi_u32 s62, s53, s56
	s_add_u32 s61, s61, s64
	s_addc_u32 s62, 0, s62
	s_mul_hi_u32 s65, s0, s56
	s_add_u32 s57, s61, s57
	s_mul_i32 s56, s0, s56
	s_addc_u32 s57, s62, s63
	s_addc_u32 s61, s65, 0
	s_add_u32 s56, s57, s56
	s_addc_u32 s57, 0, s61
	s_add_u32 s53, s53, s56
	s_cselect_b32 s56, -1, 0
	s_mul_hi_u32 s61, s54, s53
	s_cmp_lg_u32 s56, 0
	s_mul_i32 s56, s54, s53
	s_addc_u32 s0, s0, s57
	s_mul_i32 s55, s55, s53
	s_mul_i32 s54, s54, s0
	s_mul_hi_u32 s57, s53, s56
	s_add_i32 s54, s61, s54
	s_mul_hi_u32 s61, s0, s56
	s_add_i32 s54, s54, s55
	s_mul_i32 s55, s0, s56
	s_mul_i32 s63, s53, s54
	s_mul_hi_u32 s62, s53, s54
	s_add_u32 s57, s57, s63
	s_addc_u32 s62, 0, s62
	s_mul_hi_u32 s56, s0, s54
	s_add_u32 s55, s57, s55
	s_mul_i32 s54, s0, s54
	s_addc_u32 s55, s62, s61
	s_addc_u32 s56, s56, 0
	s_add_u32 s54, s55, s54
	s_addc_u32 s55, 0, s56
	s_add_u32 s53, s53, s54
	s_cselect_b32 s54, -1, 0
	v_mul_hi_u32 v21, v3, s53
	s_cmp_lg_u32 s54, 0
	v_mad_u64_u32 v[15:16], null, v20, s53, 0
	s_addc_u32 s0, s0, s55
	v_mad_u64_u32 v[12:13], null, v3, s0, 0
	v_mad_u64_u32 v[17:18], null, v20, s0, 0
	v_add_co_u32 v12, vcc_lo, v21, v12
	v_add_co_ci_u32_e64 v13, null, 0, v13, vcc_lo
	v_add_co_u32 v12, vcc_lo, v12, v15
	v_add_co_ci_u32_e32 v12, vcc_lo, v13, v16, vcc_lo
	v_add_co_ci_u32_e32 v13, vcc_lo, 0, v18, vcc_lo
	v_add_co_u32 v12, vcc_lo, v12, v17
	v_add_co_ci_u32_e64 v15, null, 0, v13, vcc_lo
	v_mul_lo_u32 v16, s3, v12
	v_mad_u64_u32 v[12:13], null, s2, v12, 0
	v_mul_lo_u32 v15, s2, v15
	v_sub_co_u32 v3, vcc_lo, v3, v12
	v_add3_u32 v13, v13, v15, v16
	v_cmp_le_u32_e64 s0, s2, v3
	v_sub_nc_u32_e32 v15, v20, v13
	v_sub_co_ci_u32_e64 v13, null, v20, v13, vcc_lo
	v_cndmask_b32_e64 v17, 0, -1, s0
	v_subrev_co_ci_u32_e64 v12, null, s3, v15, vcc_lo
	v_sub_co_u32 v15, vcc_lo, v3, s2
	v_subrev_co_ci_u32_e64 v16, null, 0, v12, vcc_lo
	v_cmp_le_u32_e64 s0, s2, v15
	v_subrev_co_ci_u32_e64 v12, null, s3, v12, vcc_lo
	v_cmp_le_u32_e32 vcc_lo, s3, v13
	v_cndmask_b32_e64 v18, 0, -1, s0
	v_cmp_le_u32_e64 s0, s3, v16
	v_cndmask_b32_e64 v21, 0, -1, vcc_lo
	v_cmp_eq_u32_e32 vcc_lo, s3, v16
	v_cndmask_b32_e64 v20, 0, -1, s0
	v_cmp_eq_u32_e64 s0, s3, v13
	v_cndmask_b32_e32 v18, v20, v18, vcc_lo
	v_sub_co_u32 v20, vcc_lo, v15, s2
	v_subrev_co_ci_u32_e64 v12, null, 0, v12, vcc_lo
	v_cmp_ne_u32_e32 vcc_lo, 0, v18
	v_cndmask_b32_e64 v17, v21, v17, s0
	v_cndmask_b32_e32 v12, v16, v12, vcc_lo
	v_cndmask_b32_e32 v15, v15, v20, vcc_lo
	v_cmp_ne_u32_e32 vcc_lo, 0, v17
	v_cndmask_b32_e32 v3, v3, v15, vcc_lo
	v_cndmask_b32_e32 v12, v13, v12, vcc_lo
	v_xor_b32_e32 v3, v3, v19
	v_xor_b32_e32 v13, v12, v19
	v_sub_co_u32 v12, vcc_lo, v3, v19
	v_sub_co_ci_u32_e64 v13, null, v13, v19, vcc_lo
.LBB3_14:                               ;   in Loop: Header=BB3_4 Depth=1
	s_andn2_saveexec_b32 s0, s1
	s_cbranch_execz .LBB3_16
; %bb.15:                               ;   in Loop: Header=BB3_4 Depth=1
	v_cvt_f32_u32_e32 v3, s16
	s_sub_i32 s1, 0, s16
	v_mov_b32_e32 v13, v2
	v_rcp_iflag_f32_e32 v3, v3
	v_mul_f32_e32 v3, 0x4f7ffffe, v3
	v_cvt_u32_f32_e32 v3, v3
	v_mul_lo_u32 v12, s1, v3
	v_mul_hi_u32 v12, v3, v12
	v_add_nc_u32_e32 v3, v3, v12
	v_mul_hi_u32 v3, v10, v3
	v_mul_lo_u32 v3, v3, s16
	v_sub_nc_u32_e32 v3, v10, v3
	v_subrev_nc_u32_e32 v12, s16, v3
	v_cmp_le_u32_e32 vcc_lo, s16, v3
	v_cndmask_b32_e32 v3, v3, v12, vcc_lo
	v_subrev_nc_u32_e32 v12, s16, v3
	v_cmp_le_u32_e32 vcc_lo, s16, v3
	v_cndmask_b32_e32 v12, v3, v12, vcc_lo
.LBB3_16:                               ;   in Loop: Header=BB3_4 Depth=1
	s_or_b32 exec_lo, exec_lo, s0
	v_or_b32_e32 v3, s59, v7
                                        ; implicit-def: $vgpr16_vgpr17
	s_mov_b32 s0, exec_lo
	v_cmpx_ne_u64_e32 0, v[2:3]
	s_xor_b32 s1, exec_lo, s0
	s_cbranch_execz .LBB3_18
; %bb.17:                               ;   in Loop: Header=BB3_4 Depth=1
	s_ashr_i32 s2, s59, 31
	v_add_co_u32 v16, vcc_lo, v6, v14
	s_add_u32 s54, s33, s2
	s_mov_b32 s3, s2
	s_addc_u32 s55, s59, s2
	v_add_co_ci_u32_e64 v17, null, v7, v14, vcc_lo
	s_xor_b64 s[54:55], s[54:55], s[2:3]
	v_cvt_f32_u32_e32 v3, s54
	v_cvt_f32_u32_e32 v15, s55
	s_sub_u32 s53, 0, s54
	s_subb_u32 s56, 0, s55
	v_xor_b32_e32 v21, v17, v14
	v_fmac_f32_e32 v3, 0x4f800000, v15
	v_rcp_f32_e32 v3, v3
	v_mul_f32_e32 v3, 0x5f7ffffc, v3
	v_mul_f32_e32 v15, 0x2f800000, v3
	v_trunc_f32_e32 v15, v15
	v_fmac_f32_e32 v3, 0xcf800000, v15
	v_cvt_u32_f32_e32 v15, v15
	v_cvt_u32_f32_e32 v3, v3
	v_readfirstlane_b32 s0, v15
	v_readfirstlane_b32 s3, v3
	s_mul_i32 s57, s53, s0
	v_xor_b32_e32 v3, v16, v14
	v_xor_b32_e32 v14, s2, v14
	s_mul_hi_u32 s62, s53, s3
	s_mul_i32 s61, s56, s3
	s_add_i32 s57, s62, s57
	s_mul_i32 s63, s53, s3
	s_add_i32 s57, s57, s61
	s_mul_hi_u32 s62, s3, s63
	s_mul_i32 s65, s3, s57
	s_mul_hi_u32 s64, s0, s63
	s_mul_i32 s61, s0, s63
	s_mul_hi_u32 s63, s3, s57
	s_add_u32 s62, s62, s65
	s_addc_u32 s63, 0, s63
	s_mul_hi_u32 s66, s0, s57
	s_add_u32 s61, s62, s61
	s_mul_i32 s57, s0, s57
	s_addc_u32 s61, s63, s64
	s_addc_u32 s62, s66, 0
	s_add_u32 s57, s61, s57
	s_addc_u32 s61, 0, s62
	s_add_u32 s3, s3, s57
	s_cselect_b32 s57, -1, 0
	s_mul_hi_u32 s62, s53, s3
	s_cmp_lg_u32 s57, 0
	s_mul_i32 s57, s53, s3
	s_addc_u32 s0, s0, s61
	s_mul_i32 s56, s56, s3
	s_mul_i32 s53, s53, s0
	s_mul_hi_u32 s61, s3, s57
	s_add_i32 s53, s62, s53
	s_mul_hi_u32 s62, s0, s57
	s_add_i32 s53, s53, s56
	s_mul_i32 s56, s0, s57
	s_mul_i32 s64, s3, s53
	s_mul_hi_u32 s63, s3, s53
	s_add_u32 s61, s61, s64
	s_addc_u32 s63, 0, s63
	s_mul_hi_u32 s57, s0, s53
	s_add_u32 s56, s61, s56
	s_mul_i32 s53, s0, s53
	s_addc_u32 s56, s63, s62
	s_addc_u32 s57, s57, 0
	s_add_u32 s53, s56, s53
	s_addc_u32 s56, 0, s57
	s_add_u32 s3, s3, s53
	s_cselect_b32 s53, -1, 0
	v_mul_hi_u32 v22, v3, s3
	s_cmp_lg_u32 s53, 0
	v_mad_u64_u32 v[17:18], null, v21, s3, 0
	s_addc_u32 s0, s0, s56
	v_mad_u64_u32 v[15:16], null, v3, s0, 0
	v_mad_u64_u32 v[19:20], null, v21, s0, 0
	v_add_co_u32 v15, vcc_lo, v22, v15
	v_add_co_ci_u32_e64 v16, null, 0, v16, vcc_lo
	v_add_co_u32 v15, vcc_lo, v15, v17
	v_add_co_ci_u32_e32 v15, vcc_lo, v16, v18, vcc_lo
	v_add_co_ci_u32_e32 v16, vcc_lo, 0, v20, vcc_lo
	v_add_co_u32 v17, vcc_lo, v15, v19
	v_add_co_ci_u32_e64 v18, null, 0, v16, vcc_lo
	v_mul_lo_u32 v19, s55, v17
	v_mad_u64_u32 v[15:16], null, s54, v17, 0
	v_mul_lo_u32 v20, s54, v18
	v_sub_co_u32 v3, vcc_lo, v3, v15
	v_add3_u32 v16, v16, v20, v19
	v_sub_nc_u32_e32 v19, v21, v16
	v_sub_co_ci_u32_e64 v16, null, v21, v16, vcc_lo
	v_subrev_co_ci_u32_e64 v15, null, s55, v19, vcc_lo
	v_add_co_u32 v19, s0, v17, 2
	v_add_co_ci_u32_e64 v20, null, 0, v18, s0
	v_sub_co_u32 v22, s0, v3, s54
	v_subrev_co_ci_u32_e64 v15, null, 0, v15, s0
	v_cmp_le_u32_e32 vcc_lo, s54, v22
	v_cndmask_b32_e64 v21, 0, -1, vcc_lo
	v_cmp_le_u32_e32 vcc_lo, s55, v15
	v_cndmask_b32_e64 v22, 0, -1, vcc_lo
	;; [unrolled: 2-line block ×4, first 2 shown]
	v_cmp_eq_u32_e32 vcc_lo, s55, v15
	v_cndmask_b32_e32 v15, v22, v21, vcc_lo
	v_add_co_u32 v21, vcc_lo, v17, 1
	v_add_co_ci_u32_e64 v22, null, 0, v18, vcc_lo
	v_cmp_eq_u32_e32 vcc_lo, s55, v16
	v_cndmask_b32_e32 v3, v23, v3, vcc_lo
	v_cmp_ne_u32_e32 vcc_lo, 0, v15
	v_cmp_ne_u32_e64 s0, 0, v3
	v_cndmask_b32_e32 v3, v21, v19, vcc_lo
	v_cndmask_b32_e32 v15, v22, v20, vcc_lo
	v_cndmask_b32_e64 v3, v17, v3, s0
	v_cndmask_b32_e64 v15, v18, v15, s0
	v_xor_b32_e32 v3, v3, v14
	v_xor_b32_e32 v15, v15, v14
	v_sub_co_u32 v16, vcc_lo, v3, v14
	v_sub_co_ci_u32_e64 v17, null, v15, v14, vcc_lo
.LBB3_18:                               ;   in Loop: Header=BB3_4 Depth=1
	s_andn2_saveexec_b32 s0, s1
	s_cbranch_execz .LBB3_20
; %bb.19:                               ;   in Loop: Header=BB3_4 Depth=1
	v_cvt_f32_u32_e32 v3, s33
	s_sub_i32 s1, 0, s33
	v_mov_b32_e32 v17, v2
	v_rcp_iflag_f32_e32 v3, v3
	v_mul_f32_e32 v3, 0x4f7ffffe, v3
	v_cvt_u32_f32_e32 v3, v3
	v_mul_lo_u32 v14, s1, v3
	v_mul_hi_u32 v14, v3, v14
	v_add_nc_u32_e32 v3, v3, v14
	v_mul_hi_u32 v3, v6, v3
	v_mul_lo_u32 v14, v3, s33
	v_add_nc_u32_e32 v15, 1, v3
	v_sub_nc_u32_e32 v14, v6, v14
	v_subrev_nc_u32_e32 v16, s33, v14
	v_cmp_le_u32_e32 vcc_lo, s33, v14
	v_cndmask_b32_e32 v14, v14, v16, vcc_lo
	v_cndmask_b32_e32 v3, v3, v15, vcc_lo
	v_cmp_le_u32_e32 vcc_lo, s33, v14
	v_add_nc_u32_e32 v15, 1, v3
	v_cndmask_b32_e32 v16, v3, v15, vcc_lo
.LBB3_20:                               ;   in Loop: Header=BB3_4 Depth=1
	s_or_b32 exec_lo, exec_lo, s0
	v_mul_lo_u32 v3, v11, s18
	v_mul_lo_u32 v11, v10, s19
	v_mad_u64_u32 v[14:15], null, v10, s18, 0
	s_mov_b32 s1, exec_lo
	v_add3_u32 v15, v15, v11, v3
	v_sub_co_u32 v3, vcc_lo, v6, v14
	v_sub_co_ci_u32_e64 v10, null, v7, v15, vcc_lo
	v_add_co_u32 v18, vcc_lo, v3, s38
	v_add_co_ci_u32_e64 v19, null, s39, v10, vcc_lo
	v_mov_b32_e32 v10, 0
	v_mov_b32_e32 v11, 0
	v_cmpx_lt_i64_e64 s[24:25], v[18:19]
	s_cbranch_execz .LBB3_26
; %bb.21:                               ;   in Loop: Header=BB3_4 Depth=1
	v_add_co_u32 v20, vcc_lo, v18, s26
	v_add_co_ci_u32_e64 v21, null, s27, v19, vcc_lo
                                        ; implicit-def: $vgpr10_vgpr11
	s_mov_b32 s0, exec_lo
	v_or_b32_e32 v3, s43, v21
	v_cmpx_ne_u64_e32 0, v[2:3]
	s_xor_b32 s53, exec_lo, s0
	s_cbranch_execz .LBB3_23
; %bb.22:                               ;   in Loop: Header=BB3_4 Depth=1
	s_ashr_i32 s2, s43, 31
	v_ashrrev_i32_e32 v24, 31, v21
	s_add_u32 s54, s42, s2
	s_mov_b32 s3, s2
	s_addc_u32 s55, s43, s2
	s_xor_b64 s[54:55], s[54:55], s[2:3]
	v_add_co_u32 v11, vcc_lo, v20, v24
	v_cvt_f32_u32_e32 v3, s54
	v_cvt_f32_u32_e32 v10, s55
	s_sub_u32 s56, 0, s54
	s_subb_u32 s57, 0, s55
	v_add_co_ci_u32_e64 v20, null, v21, v24, vcc_lo
	v_fmac_f32_e32 v3, 0x4f800000, v10
	v_xor_b32_e32 v25, v20, v24
	v_rcp_f32_e32 v3, v3
	v_mul_f32_e32 v3, 0x5f7ffffc, v3
	v_mul_f32_e32 v10, 0x2f800000, v3
	v_trunc_f32_e32 v10, v10
	v_fmac_f32_e32 v3, 0xcf800000, v10
	v_cvt_u32_f32_e32 v10, v10
	v_cvt_u32_f32_e32 v3, v3
	v_readfirstlane_b32 s0, v10
	v_readfirstlane_b32 s3, v3
	s_mul_i32 s61, s56, s0
	v_xor_b32_e32 v3, v11, v24
	s_mul_hi_u32 s63, s56, s3
	s_mul_i32 s62, s57, s3
	s_add_i32 s61, s63, s61
	s_mul_i32 s64, s56, s3
	s_add_i32 s61, s61, s62
	s_mul_hi_u32 s63, s3, s64
	s_mul_i32 s66, s3, s61
	s_mul_hi_u32 s65, s0, s64
	s_mul_i32 s62, s0, s64
	s_mul_hi_u32 s64, s3, s61
	s_add_u32 s63, s63, s66
	s_addc_u32 s64, 0, s64
	s_mul_hi_u32 s67, s0, s61
	s_add_u32 s62, s63, s62
	s_mul_i32 s61, s0, s61
	s_addc_u32 s62, s64, s65
	s_addc_u32 s63, s67, 0
	s_add_u32 s61, s62, s61
	s_addc_u32 s62, 0, s63
	s_add_u32 s3, s3, s61
	s_cselect_b32 s61, -1, 0
	s_mul_hi_u32 s63, s56, s3
	s_cmp_lg_u32 s61, 0
	s_mul_i32 s61, s56, s3
	s_addc_u32 s0, s0, s62
	s_mul_i32 s57, s57, s3
	s_mul_i32 s56, s56, s0
	s_mul_hi_u32 s62, s3, s61
	s_add_i32 s56, s63, s56
	s_mul_hi_u32 s63, s0, s61
	s_add_i32 s56, s56, s57
	s_mul_i32 s57, s0, s61
	s_mul_i32 s65, s3, s56
	s_mul_hi_u32 s64, s3, s56
	s_add_u32 s62, s62, s65
	s_addc_u32 s64, 0, s64
	s_mul_hi_u32 s61, s0, s56
	s_add_u32 s57, s62, s57
	s_mul_i32 s56, s0, s56
	s_addc_u32 s57, s64, s63
	s_addc_u32 s61, s61, 0
	s_add_u32 s56, s57, s56
	s_addc_u32 s57, 0, s61
	s_add_u32 s3, s3, s56
	s_cselect_b32 s56, -1, 0
	v_mul_hi_u32 v26, v3, s3
	s_cmp_lg_u32 s56, 0
	v_mad_u64_u32 v[20:21], null, v25, s3, 0
	s_addc_u32 s0, s0, s57
	v_mad_u64_u32 v[10:11], null, v3, s0, 0
	v_mad_u64_u32 v[22:23], null, v25, s0, 0
	v_add_co_u32 v10, vcc_lo, v26, v10
	v_add_co_ci_u32_e64 v11, null, 0, v11, vcc_lo
	v_add_co_u32 v10, vcc_lo, v10, v20
	v_add_co_ci_u32_e32 v10, vcc_lo, v11, v21, vcc_lo
	v_add_co_ci_u32_e32 v11, vcc_lo, 0, v23, vcc_lo
	v_add_co_u32 v20, vcc_lo, v10, v22
	v_add_co_ci_u32_e64 v21, null, 0, v11, vcc_lo
	v_mul_lo_u32 v22, s55, v20
	v_mad_u64_u32 v[10:11], null, s54, v20, 0
	v_mul_lo_u32 v23, s54, v21
	v_sub_co_u32 v3, vcc_lo, v3, v10
	v_add3_u32 v11, v11, v23, v22
	v_sub_nc_u32_e32 v22, v25, v11
	v_sub_co_ci_u32_e64 v11, null, v25, v11, vcc_lo
	v_subrev_co_ci_u32_e64 v10, null, s55, v22, vcc_lo
	v_add_co_u32 v22, s0, v20, 2
	v_add_co_ci_u32_e64 v23, null, 0, v21, s0
	v_sub_co_u32 v26, s0, v3, s54
	v_subrev_co_ci_u32_e64 v10, null, 0, v10, s0
	v_cmp_le_u32_e32 vcc_lo, s54, v26
	v_cndmask_b32_e64 v25, 0, -1, vcc_lo
	v_cmp_le_u32_e32 vcc_lo, s55, v10
	v_cndmask_b32_e64 v26, 0, -1, vcc_lo
	;; [unrolled: 2-line block ×4, first 2 shown]
	v_cmp_eq_u32_e32 vcc_lo, s55, v10
	v_cndmask_b32_e32 v10, v26, v25, vcc_lo
	v_add_co_u32 v25, vcc_lo, v20, 1
	v_add_co_ci_u32_e64 v26, null, 0, v21, vcc_lo
	v_cmp_eq_u32_e32 vcc_lo, s55, v11
	v_xor_b32_e32 v11, s2, v24
	v_cndmask_b32_e32 v3, v27, v3, vcc_lo
	v_cmp_ne_u32_e32 vcc_lo, 0, v10
	v_cmp_ne_u32_e64 s0, 0, v3
	v_cndmask_b32_e32 v3, v25, v22, vcc_lo
	v_cndmask_b32_e32 v10, v26, v23, vcc_lo
	v_cndmask_b32_e64 v3, v20, v3, s0
	v_cndmask_b32_e64 v10, v21, v10, s0
	v_xor_b32_e32 v3, v3, v11
	v_xor_b32_e32 v20, v10, v11
	v_sub_co_u32 v10, vcc_lo, v3, v11
	v_sub_co_ci_u32_e64 v11, null, v20, v11, vcc_lo
                                        ; implicit-def: $vgpr20
.LBB3_23:                               ;   in Loop: Header=BB3_4 Depth=1
	s_andn2_saveexec_b32 s0, s53
	s_cbranch_execz .LBB3_25
; %bb.24:                               ;   in Loop: Header=BB3_4 Depth=1
	v_cvt_f32_u32_e32 v3, s42
	s_sub_i32 s2, 0, s42
	v_rcp_iflag_f32_e32 v3, v3
	v_mul_f32_e32 v3, 0x4f7ffffe, v3
	v_cvt_u32_f32_e32 v3, v3
	v_mul_lo_u32 v10, s2, v3
	v_mul_hi_u32 v10, v3, v10
	v_add_nc_u32_e32 v3, v3, v10
	v_mul_hi_u32 v3, v20, v3
	v_mul_lo_u32 v10, v3, s42
	v_add_nc_u32_e32 v11, 1, v3
	v_sub_nc_u32_e32 v10, v20, v10
	v_subrev_nc_u32_e32 v20, s42, v10
	v_cmp_le_u32_e32 vcc_lo, s42, v10
	v_cndmask_b32_e32 v10, v10, v20, vcc_lo
	v_cndmask_b32_e32 v3, v3, v11, vcc_lo
	v_cmp_le_u32_e32 vcc_lo, s42, v10
	v_add_nc_u32_e32 v11, 1, v3
	v_cndmask_b32_e32 v10, v3, v11, vcc_lo
	v_mov_b32_e32 v11, v2
.LBB3_25:                               ;   in Loop: Header=BB3_4 Depth=1
	s_or_b32 exec_lo, exec_lo, s0
	v_add_co_u32 v10, vcc_lo, v10, 1
	v_add_co_ci_u32_e64 v11, null, 0, v11, vcc_lo
.LBB3_26:                               ;   in Loop: Header=BB3_4 Depth=1
	s_or_b32 exec_lo, exec_lo, s1
	v_or_b32_e32 v3, s43, v19
                                        ; implicit-def: $vgpr24_vgpr25
	s_mov_b32 s0, exec_lo
	v_cmpx_ne_u64_e32 0, v[2:3]
	s_xor_b32 s1, exec_lo, s0
	s_cbranch_execz .LBB3_28
; %bb.27:                               ;   in Loop: Header=BB3_4 Depth=1
	s_ashr_i32 s2, s43, 31
	v_ashrrev_i32_e32 v24, 31, v19
	s_add_u32 s54, s42, s2
	s_mov_b32 s3, s2
	s_addc_u32 s55, s43, s2
	s_xor_b64 s[54:55], s[54:55], s[2:3]
	v_add_co_u32 v18, vcc_lo, v18, v24
	v_cvt_f32_u32_e32 v3, s54
	v_cvt_f32_u32_e32 v20, s55
	s_sub_u32 s53, 0, s54
	s_subb_u32 s56, 0, s55
	v_add_co_ci_u32_e64 v19, null, v19, v24, vcc_lo
	v_fmac_f32_e32 v3, 0x4f800000, v20
	v_xor_b32_e32 v25, v19, v24
	v_rcp_f32_e32 v3, v3
	v_mul_f32_e32 v3, 0x5f7ffffc, v3
	v_mul_f32_e32 v20, 0x2f800000, v3
	v_trunc_f32_e32 v20, v20
	v_fmac_f32_e32 v3, 0xcf800000, v20
	v_cvt_u32_f32_e32 v20, v20
	v_cvt_u32_f32_e32 v3, v3
	v_readfirstlane_b32 s0, v20
	v_readfirstlane_b32 s3, v3
	s_mul_i32 s57, s53, s0
	v_xor_b32_e32 v3, v18, v24
	s_mul_hi_u32 s62, s53, s3
	s_mul_i32 s61, s56, s3
	s_add_i32 s57, s62, s57
	s_mul_i32 s63, s53, s3
	s_add_i32 s57, s57, s61
	s_mul_hi_u32 s62, s3, s63
	s_mul_i32 s65, s3, s57
	s_mul_hi_u32 s64, s0, s63
	s_mul_i32 s61, s0, s63
	s_mul_hi_u32 s63, s3, s57
	s_add_u32 s62, s62, s65
	s_addc_u32 s63, 0, s63
	s_mul_hi_u32 s66, s0, s57
	s_add_u32 s61, s62, s61
	s_mul_i32 s57, s0, s57
	s_addc_u32 s61, s63, s64
	s_addc_u32 s62, s66, 0
	s_add_u32 s57, s61, s57
	s_addc_u32 s61, 0, s62
	s_add_u32 s3, s3, s57
	s_cselect_b32 s57, -1, 0
	s_mul_hi_u32 s62, s53, s3
	s_cmp_lg_u32 s57, 0
	s_mul_i32 s57, s53, s3
	s_addc_u32 s0, s0, s61
	s_mul_i32 s56, s56, s3
	s_mul_i32 s53, s53, s0
	s_mul_hi_u32 s61, s3, s57
	s_add_i32 s53, s62, s53
	s_mul_hi_u32 s62, s0, s57
	s_add_i32 s53, s53, s56
	s_mul_i32 s56, s0, s57
	s_mul_i32 s64, s3, s53
	s_mul_hi_u32 s63, s3, s53
	s_add_u32 s61, s61, s64
	s_addc_u32 s63, 0, s63
	s_mul_hi_u32 s57, s0, s53
	s_add_u32 s56, s61, s56
	s_mul_i32 s53, s0, s53
	s_addc_u32 s56, s63, s62
	s_addc_u32 s57, s57, 0
	s_add_u32 s53, s56, s53
	s_addc_u32 s56, 0, s57
	s_add_u32 s3, s3, s53
	s_cselect_b32 s53, -1, 0
	v_mul_hi_u32 v26, v3, s3
	s_cmp_lg_u32 s53, 0
	v_mad_u64_u32 v[20:21], null, v25, s3, 0
	s_addc_u32 s0, s0, s56
	v_mad_u64_u32 v[18:19], null, v3, s0, 0
	v_mad_u64_u32 v[22:23], null, v25, s0, 0
	v_add_co_u32 v18, vcc_lo, v26, v18
	v_add_co_ci_u32_e64 v19, null, 0, v19, vcc_lo
	v_add_co_u32 v18, vcc_lo, v18, v20
	v_add_co_ci_u32_e32 v18, vcc_lo, v19, v21, vcc_lo
	v_add_co_ci_u32_e32 v19, vcc_lo, 0, v23, vcc_lo
	v_add_co_u32 v20, vcc_lo, v18, v22
	v_add_co_ci_u32_e64 v21, null, 0, v19, vcc_lo
	v_mul_lo_u32 v22, s55, v20
	v_mad_u64_u32 v[18:19], null, s54, v20, 0
	v_mul_lo_u32 v23, s54, v21
	v_sub_co_u32 v3, vcc_lo, v3, v18
	v_add3_u32 v19, v19, v23, v22
	v_sub_nc_u32_e32 v22, v25, v19
	v_sub_co_ci_u32_e64 v19, null, v25, v19, vcc_lo
	v_subrev_co_ci_u32_e64 v18, null, s55, v22, vcc_lo
	v_add_co_u32 v22, s0, v20, 2
	v_add_co_ci_u32_e64 v23, null, 0, v21, s0
	v_sub_co_u32 v26, s0, v3, s54
	v_subrev_co_ci_u32_e64 v18, null, 0, v18, s0
	v_cmp_le_u32_e32 vcc_lo, s54, v26
	v_cndmask_b32_e64 v25, 0, -1, vcc_lo
	v_cmp_le_u32_e32 vcc_lo, s55, v18
	v_cndmask_b32_e64 v26, 0, -1, vcc_lo
	;; [unrolled: 2-line block ×4, first 2 shown]
	v_cmp_eq_u32_e32 vcc_lo, s55, v18
	v_cndmask_b32_e32 v18, v26, v25, vcc_lo
	v_add_co_u32 v25, vcc_lo, v20, 1
	v_add_co_ci_u32_e64 v26, null, 0, v21, vcc_lo
	v_cmp_eq_u32_e32 vcc_lo, s55, v19
	v_xor_b32_e32 v19, s2, v24
	v_cndmask_b32_e32 v3, v27, v3, vcc_lo
	v_cmp_ne_u32_e32 vcc_lo, 0, v18
	v_cmp_ne_u32_e64 s0, 0, v3
	v_cndmask_b32_e32 v3, v25, v22, vcc_lo
	v_cndmask_b32_e32 v18, v26, v23, vcc_lo
	v_cndmask_b32_e64 v3, v20, v3, s0
	v_cndmask_b32_e64 v18, v21, v18, s0
	v_xor_b32_e32 v3, v3, v19
	v_xor_b32_e32 v18, v18, v19
	v_sub_co_u32 v24, vcc_lo, v3, v19
	v_sub_co_ci_u32_e64 v25, null, v18, v19, vcc_lo
                                        ; implicit-def: $vgpr18
.LBB3_28:                               ;   in Loop: Header=BB3_4 Depth=1
	s_andn2_saveexec_b32 s0, s1
	s_cbranch_execz .LBB3_30
; %bb.29:                               ;   in Loop: Header=BB3_4 Depth=1
	v_cvt_f32_u32_e32 v3, s42
	s_sub_i32 s1, 0, s42
	v_mov_b32_e32 v25, v2
	v_rcp_iflag_f32_e32 v3, v3
	v_mul_f32_e32 v3, 0x4f7ffffe, v3
	v_cvt_u32_f32_e32 v3, v3
	v_mul_lo_u32 v19, s1, v3
	v_mul_hi_u32 v19, v3, v19
	v_add_nc_u32_e32 v3, v3, v19
	v_mul_hi_u32 v3, v18, v3
	v_mul_lo_u32 v19, v3, s42
	v_sub_nc_u32_e32 v18, v18, v19
	v_add_nc_u32_e32 v19, 1, v3
	v_subrev_nc_u32_e32 v20, s42, v18
	v_cmp_le_u32_e32 vcc_lo, s42, v18
	v_cndmask_b32_e32 v18, v18, v20, vcc_lo
	v_cndmask_b32_e32 v3, v3, v19, vcc_lo
	v_cmp_le_u32_e32 vcc_lo, s42, v18
	v_add_nc_u32_e32 v19, 1, v3
	v_cndmask_b32_e32 v24, v3, v19, vcc_lo
.LBB3_30:                               ;   in Loop: Header=BB3_4 Depth=1
	s_or_b32 exec_lo, exec_lo, s0
	v_add_co_u32 v12, vcc_lo, v12, s36
	v_mov_b32_e32 v18, 0
	v_add_co_ci_u32_e64 v13, null, s37, v13, vcc_lo
	v_mov_b32_e32 v19, 0
	s_mov_b32 s1, exec_lo
	v_cmpx_lt_i64_e64 s[30:31], v[12:13]
	s_cbranch_execz .LBB3_36
; %bb.31:                               ;   in Loop: Header=BB3_4 Depth=1
	v_add_co_u32 v20, vcc_lo, v12, s34
	v_add_co_ci_u32_e64 v21, null, s35, v13, vcc_lo
                                        ; implicit-def: $vgpr18_vgpr19
	s_mov_b32 s0, exec_lo
	v_or_b32_e32 v3, s41, v21
	v_cmpx_ne_u64_e32 0, v[2:3]
	s_xor_b32 s53, exec_lo, s0
	s_cbranch_execz .LBB3_33
; %bb.32:                               ;   in Loop: Header=BB3_4 Depth=1
	s_ashr_i32 s2, s41, 31
	v_ashrrev_i32_e32 v26, 31, v21
	s_add_u32 s54, s40, s2
	s_mov_b32 s3, s2
	s_addc_u32 s55, s41, s2
	s_xor_b64 s[54:55], s[54:55], s[2:3]
	v_add_co_u32 v19, vcc_lo, v20, v26
	v_cvt_f32_u32_e32 v3, s54
	v_cvt_f32_u32_e32 v18, s55
	s_sub_u32 s56, 0, s54
	s_subb_u32 s57, 0, s55
	v_add_co_ci_u32_e64 v20, null, v21, v26, vcc_lo
	v_fmac_f32_e32 v3, 0x4f800000, v18
	v_xor_b32_e32 v27, v20, v26
	v_rcp_f32_e32 v3, v3
	v_mul_f32_e32 v3, 0x5f7ffffc, v3
	v_mul_f32_e32 v18, 0x2f800000, v3
	v_trunc_f32_e32 v18, v18
	v_fmac_f32_e32 v3, 0xcf800000, v18
	v_cvt_u32_f32_e32 v18, v18
	v_cvt_u32_f32_e32 v3, v3
	v_readfirstlane_b32 s0, v18
	v_readfirstlane_b32 s3, v3
	s_mul_i32 s61, s56, s0
	v_xor_b32_e32 v3, v19, v26
	s_mul_hi_u32 s63, s56, s3
	s_mul_i32 s62, s57, s3
	s_add_i32 s61, s63, s61
	s_mul_i32 s64, s56, s3
	s_add_i32 s61, s61, s62
	s_mul_hi_u32 s63, s3, s64
	s_mul_i32 s66, s3, s61
	s_mul_hi_u32 s65, s0, s64
	s_mul_i32 s62, s0, s64
	s_mul_hi_u32 s64, s3, s61
	s_add_u32 s63, s63, s66
	s_addc_u32 s64, 0, s64
	s_mul_hi_u32 s67, s0, s61
	s_add_u32 s62, s63, s62
	s_mul_i32 s61, s0, s61
	s_addc_u32 s62, s64, s65
	s_addc_u32 s63, s67, 0
	s_add_u32 s61, s62, s61
	s_addc_u32 s62, 0, s63
	s_add_u32 s3, s3, s61
	s_cselect_b32 s61, -1, 0
	s_mul_hi_u32 s63, s56, s3
	s_cmp_lg_u32 s61, 0
	s_mul_i32 s61, s56, s3
	s_addc_u32 s0, s0, s62
	s_mul_i32 s57, s57, s3
	s_mul_i32 s56, s56, s0
	s_mul_hi_u32 s62, s3, s61
	s_add_i32 s56, s63, s56
	s_mul_hi_u32 s63, s0, s61
	s_add_i32 s56, s56, s57
	s_mul_i32 s57, s0, s61
	s_mul_i32 s65, s3, s56
	s_mul_hi_u32 s64, s3, s56
	s_add_u32 s62, s62, s65
	s_addc_u32 s64, 0, s64
	s_mul_hi_u32 s61, s0, s56
	s_add_u32 s57, s62, s57
	s_mul_i32 s56, s0, s56
	s_addc_u32 s57, s64, s63
	s_addc_u32 s61, s61, 0
	s_add_u32 s56, s57, s56
	s_addc_u32 s57, 0, s61
	s_add_u32 s3, s3, s56
	s_cselect_b32 s56, -1, 0
	v_mul_hi_u32 v28, v3, s3
	s_cmp_lg_u32 s56, 0
	v_mad_u64_u32 v[20:21], null, v27, s3, 0
	s_addc_u32 s0, s0, s57
	v_mad_u64_u32 v[18:19], null, v3, s0, 0
	v_mad_u64_u32 v[22:23], null, v27, s0, 0
	v_add_co_u32 v18, vcc_lo, v28, v18
	v_add_co_ci_u32_e64 v19, null, 0, v19, vcc_lo
	v_add_co_u32 v18, vcc_lo, v18, v20
	v_add_co_ci_u32_e32 v18, vcc_lo, v19, v21, vcc_lo
	v_add_co_ci_u32_e32 v19, vcc_lo, 0, v23, vcc_lo
	v_add_co_u32 v20, vcc_lo, v18, v22
	v_add_co_ci_u32_e64 v21, null, 0, v19, vcc_lo
	v_mul_lo_u32 v22, s55, v20
	v_mad_u64_u32 v[18:19], null, s54, v20, 0
	v_mul_lo_u32 v23, s54, v21
	v_sub_co_u32 v3, vcc_lo, v3, v18
	v_add3_u32 v19, v19, v23, v22
	v_sub_nc_u32_e32 v22, v27, v19
	v_sub_co_ci_u32_e64 v19, null, v27, v19, vcc_lo
	v_subrev_co_ci_u32_e64 v18, null, s55, v22, vcc_lo
	v_add_co_u32 v22, s0, v20, 2
	v_add_co_ci_u32_e64 v23, null, 0, v21, s0
	v_sub_co_u32 v28, s0, v3, s54
	v_subrev_co_ci_u32_e64 v18, null, 0, v18, s0
	v_cmp_le_u32_e32 vcc_lo, s54, v28
	v_cndmask_b32_e64 v27, 0, -1, vcc_lo
	v_cmp_le_u32_e32 vcc_lo, s55, v18
	v_cndmask_b32_e64 v28, 0, -1, vcc_lo
	;; [unrolled: 2-line block ×4, first 2 shown]
	v_cmp_eq_u32_e32 vcc_lo, s55, v18
	v_cndmask_b32_e32 v18, v28, v27, vcc_lo
	v_add_co_u32 v27, vcc_lo, v20, 1
	v_add_co_ci_u32_e64 v28, null, 0, v21, vcc_lo
	v_cmp_eq_u32_e32 vcc_lo, s55, v19
	v_xor_b32_e32 v19, s2, v26
	v_cndmask_b32_e32 v3, v29, v3, vcc_lo
	v_cmp_ne_u32_e32 vcc_lo, 0, v18
	v_cmp_ne_u32_e64 s0, 0, v3
	v_cndmask_b32_e32 v3, v27, v22, vcc_lo
	v_cndmask_b32_e32 v18, v28, v23, vcc_lo
	v_cndmask_b32_e64 v3, v20, v3, s0
	v_cndmask_b32_e64 v18, v21, v18, s0
	v_xor_b32_e32 v3, v3, v19
	v_xor_b32_e32 v20, v18, v19
	v_sub_co_u32 v18, vcc_lo, v3, v19
	v_sub_co_ci_u32_e64 v19, null, v20, v19, vcc_lo
                                        ; implicit-def: $vgpr20
.LBB3_33:                               ;   in Loop: Header=BB3_4 Depth=1
	s_andn2_saveexec_b32 s0, s53
	s_cbranch_execz .LBB3_35
; %bb.34:                               ;   in Loop: Header=BB3_4 Depth=1
	v_cvt_f32_u32_e32 v3, s40
	s_sub_i32 s2, 0, s40
	v_rcp_iflag_f32_e32 v3, v3
	v_mul_f32_e32 v3, 0x4f7ffffe, v3
	v_cvt_u32_f32_e32 v3, v3
	v_mul_lo_u32 v18, s2, v3
	v_mul_hi_u32 v18, v3, v18
	v_add_nc_u32_e32 v3, v3, v18
	v_mul_hi_u32 v3, v20, v3
	v_mul_lo_u32 v18, v3, s40
	v_add_nc_u32_e32 v19, 1, v3
	v_sub_nc_u32_e32 v18, v20, v18
	v_subrev_nc_u32_e32 v20, s40, v18
	v_cmp_le_u32_e32 vcc_lo, s40, v18
	v_cndmask_b32_e32 v18, v18, v20, vcc_lo
	v_cndmask_b32_e32 v3, v3, v19, vcc_lo
	v_cmp_le_u32_e32 vcc_lo, s40, v18
	v_add_nc_u32_e32 v19, 1, v3
	v_cndmask_b32_e32 v18, v3, v19, vcc_lo
	v_mov_b32_e32 v19, v2
.LBB3_35:                               ;   in Loop: Header=BB3_4 Depth=1
	s_or_b32 exec_lo, exec_lo, s0
	v_add_co_u32 v18, vcc_lo, v18, 1
	v_add_co_ci_u32_e64 v19, null, 0, v19, vcc_lo
.LBB3_36:                               ;   in Loop: Header=BB3_4 Depth=1
	s_or_b32 exec_lo, exec_lo, s1
	v_or_b32_e32 v3, s41, v13
                                        ; implicit-def: $vgpr20_vgpr21
	s_mov_b32 s0, exec_lo
	v_cmpx_ne_u64_e32 0, v[2:3]
	s_xor_b32 s1, exec_lo, s0
	s_cbranch_execz .LBB3_38
; %bb.37:                               ;   in Loop: Header=BB3_4 Depth=1
	s_ashr_i32 s2, s41, 31
	v_ashrrev_i32_e32 v28, 31, v13
	s_add_u32 s54, s40, s2
	s_mov_b32 s3, s2
	s_addc_u32 s55, s41, s2
	s_xor_b64 s[54:55], s[54:55], s[2:3]
	v_add_co_u32 v21, vcc_lo, v12, v28
	v_cvt_f32_u32_e32 v3, s54
	v_cvt_f32_u32_e32 v20, s55
	s_sub_u32 s53, 0, s54
	s_subb_u32 s56, 0, s55
	v_add_co_ci_u32_e64 v22, null, v13, v28, vcc_lo
	v_fmac_f32_e32 v3, 0x4f800000, v20
	v_xor_b32_e32 v29, v22, v28
	v_rcp_f32_e32 v3, v3
	v_mul_f32_e32 v3, 0x5f7ffffc, v3
	v_mul_f32_e32 v20, 0x2f800000, v3
	v_trunc_f32_e32 v20, v20
	v_fmac_f32_e32 v3, 0xcf800000, v20
	v_cvt_u32_f32_e32 v20, v20
	v_cvt_u32_f32_e32 v3, v3
	v_readfirstlane_b32 s0, v20
	v_readfirstlane_b32 s3, v3
	s_mul_i32 s57, s53, s0
	v_xor_b32_e32 v3, v21, v28
	s_mul_hi_u32 s62, s53, s3
	s_mul_i32 s61, s56, s3
	s_add_i32 s57, s62, s57
	s_mul_i32 s63, s53, s3
	s_add_i32 s57, s57, s61
	s_mul_hi_u32 s62, s3, s63
	s_mul_i32 s65, s3, s57
	s_mul_hi_u32 s64, s0, s63
	s_mul_i32 s61, s0, s63
	s_mul_hi_u32 s63, s3, s57
	s_add_u32 s62, s62, s65
	s_addc_u32 s63, 0, s63
	s_mul_hi_u32 s66, s0, s57
	s_add_u32 s61, s62, s61
	s_mul_i32 s57, s0, s57
	s_addc_u32 s61, s63, s64
	s_addc_u32 s62, s66, 0
	s_add_u32 s57, s61, s57
	s_addc_u32 s61, 0, s62
	s_add_u32 s3, s3, s57
	s_cselect_b32 s57, -1, 0
	s_mul_hi_u32 s62, s53, s3
	s_cmp_lg_u32 s57, 0
	s_mul_i32 s57, s53, s3
	s_addc_u32 s0, s0, s61
	s_mul_i32 s56, s56, s3
	s_mul_i32 s53, s53, s0
	s_mul_hi_u32 s61, s3, s57
	s_add_i32 s53, s62, s53
	s_mul_hi_u32 s62, s0, s57
	s_add_i32 s53, s53, s56
	s_mul_i32 s56, s0, s57
	s_mul_i32 s64, s3, s53
	s_mul_hi_u32 s63, s3, s53
	s_add_u32 s61, s61, s64
	s_addc_u32 s63, 0, s63
	s_mul_hi_u32 s57, s0, s53
	s_add_u32 s56, s61, s56
	s_mul_i32 s53, s0, s53
	s_addc_u32 s56, s63, s62
	s_addc_u32 s57, s57, 0
	s_add_u32 s53, s56, s53
	s_addc_u32 s56, 0, s57
	s_add_u32 s3, s3, s53
	s_cselect_b32 s53, -1, 0
	v_mul_hi_u32 v30, v3, s3
	s_cmp_lg_u32 s53, 0
	v_mad_u64_u32 v[22:23], null, v29, s3, 0
	s_addc_u32 s0, s0, s56
	v_mad_u64_u32 v[20:21], null, v3, s0, 0
	v_mad_u64_u32 v[26:27], null, v29, s0, 0
	v_add_co_u32 v20, vcc_lo, v30, v20
	v_add_co_ci_u32_e64 v21, null, 0, v21, vcc_lo
	v_add_co_u32 v20, vcc_lo, v20, v22
	v_add_co_ci_u32_e32 v20, vcc_lo, v21, v23, vcc_lo
	v_add_co_ci_u32_e32 v21, vcc_lo, 0, v27, vcc_lo
	v_add_co_u32 v22, vcc_lo, v20, v26
	v_add_co_ci_u32_e64 v23, null, 0, v21, vcc_lo
	v_mul_lo_u32 v26, s55, v22
	v_mad_u64_u32 v[20:21], null, s54, v22, 0
	v_mul_lo_u32 v27, s54, v23
	v_sub_co_u32 v3, vcc_lo, v3, v20
	v_add3_u32 v21, v21, v27, v26
	v_sub_nc_u32_e32 v26, v29, v21
	v_sub_co_ci_u32_e64 v21, null, v29, v21, vcc_lo
	v_subrev_co_ci_u32_e64 v20, null, s55, v26, vcc_lo
	v_add_co_u32 v26, s0, v22, 2
	v_add_co_ci_u32_e64 v27, null, 0, v23, s0
	v_sub_co_u32 v30, s0, v3, s54
	v_subrev_co_ci_u32_e64 v20, null, 0, v20, s0
	v_cmp_le_u32_e32 vcc_lo, s54, v30
	v_cndmask_b32_e64 v29, 0, -1, vcc_lo
	v_cmp_le_u32_e32 vcc_lo, s55, v20
	v_cndmask_b32_e64 v30, 0, -1, vcc_lo
	;; [unrolled: 2-line block ×4, first 2 shown]
	v_cmp_eq_u32_e32 vcc_lo, s55, v20
	v_cndmask_b32_e32 v20, v30, v29, vcc_lo
	v_add_co_u32 v29, vcc_lo, v22, 1
	v_add_co_ci_u32_e64 v30, null, 0, v23, vcc_lo
	v_cmp_eq_u32_e32 vcc_lo, s55, v21
	v_xor_b32_e32 v21, s2, v28
	v_cndmask_b32_e32 v3, v31, v3, vcc_lo
	v_cmp_ne_u32_e32 vcc_lo, 0, v20
	v_cmp_ne_u32_e64 s0, 0, v3
	v_cndmask_b32_e32 v3, v29, v26, vcc_lo
	v_cndmask_b32_e32 v20, v30, v27, vcc_lo
	v_cndmask_b32_e64 v3, v22, v3, s0
	v_cndmask_b32_e64 v20, v23, v20, s0
	v_xor_b32_e32 v3, v3, v21
	v_xor_b32_e32 v22, v20, v21
	v_sub_co_u32 v20, vcc_lo, v3, v21
	v_sub_co_ci_u32_e64 v21, null, v22, v21, vcc_lo
.LBB3_38:                               ;   in Loop: Header=BB3_4 Depth=1
	s_andn2_saveexec_b32 s0, s1
	s_cbranch_execz .LBB3_40
; %bb.39:                               ;   in Loop: Header=BB3_4 Depth=1
	v_cvt_f32_u32_e32 v3, s40
	s_sub_i32 s1, 0, s40
	v_rcp_iflag_f32_e32 v3, v3
	v_mul_f32_e32 v3, 0x4f7ffffe, v3
	v_cvt_u32_f32_e32 v3, v3
	v_mul_lo_u32 v20, s1, v3
	v_mul_hi_u32 v20, v3, v20
	v_add_nc_u32_e32 v3, v3, v20
	v_mul_hi_u32 v3, v12, v3
	v_mul_lo_u32 v20, v3, s40
	v_add_nc_u32_e32 v21, 1, v3
	v_sub_nc_u32_e32 v20, v12, v20
	v_subrev_nc_u32_e32 v22, s40, v20
	v_cmp_le_u32_e32 vcc_lo, s40, v20
	v_cndmask_b32_e32 v20, v20, v22, vcc_lo
	v_cndmask_b32_e32 v3, v3, v21, vcc_lo
	v_cmp_le_u32_e32 vcc_lo, s40, v20
	v_add_nc_u32_e32 v21, 1, v3
	v_cndmask_b32_e32 v20, v3, v21, vcc_lo
	v_mov_b32_e32 v21, v2
.LBB3_40:                               ;   in Loop: Header=BB3_4 Depth=1
	s_or_b32 exec_lo, exec_lo, s0
	v_add_co_u32 v20, vcc_lo, v20, 1
	v_add_co_ci_u32_e64 v21, null, 0, v21, vcc_lo
	v_mov_b32_e32 v23, 0
	v_mov_b32_e32 v22, 0
	s_mov_b32 s53, exec_lo
	v_cmp_gt_i64_e32 vcc_lo, s[48:49], v[20:21]
	v_cndmask_b32_e32 v21, s49, v21, vcc_lo
	v_cndmask_b32_e32 v20, s48, v20, vcc_lo
	v_cmpx_lt_i64_e64 v[18:19], v[20:21]
	s_cbranch_execz .LBB3_3
; %bb.41:                               ;   in Loop: Header=BB3_4 Depth=1
	v_add_co_u32 v22, vcc_lo, v24, 1
	v_add_co_ci_u32_e64 v23, null, 0, v25, vcc_lo
	v_lshlrev_b64 v[26:27], 3, v[10:11]
	v_mul_lo_u32 v3, v17, s20
	v_mul_lo_u32 v28, v16, s21
	v_cmp_gt_i64_e32 vcc_lo, s[50:51], v[22:23]
	v_mad_u64_u32 v[16:17], null, v16, s20, 0
	v_mul_lo_u32 v31, s43, v10
	v_mul_lo_u32 v32, s42, v11
	;; [unrolled: 1-line block ×3, first 2 shown]
	v_cndmask_b32_e32 v25, s51, v23, vcc_lo
	v_cndmask_b32_e32 v24, s50, v22, vcc_lo
	v_mad_u64_u32 v[22:23], null, s42, v10, 0
	v_mul_lo_u32 v30, s13, v4
	v_mad_u64_u32 v[26:27], null, s12, v4, v[26:27]
	v_add3_u32 v17, v17, v28, v3
	v_add_co_u32 v3, vcc_lo, s38, v0
	v_add_co_ci_u32_e64 v28, null, s39, v1, vcc_lo
	v_add3_u32 v23, v23, v32, v31
	v_add3_u32 v27, v30, v27, v29
	v_sub_co_u32 v3, vcc_lo, v3, v22
	v_cmp_lt_i64_e64 s0, v[10:11], v[24:25]
	v_sub_co_ci_u32_e64 v22, null, v28, v23, vcc_lo
	v_add_co_u32 v26, vcc_lo, s10, v26
	v_add_co_ci_u32_e64 v27, null, s11, v27, vcc_lo
	v_sub_co_u32 v3, vcc_lo, v3, v14
	v_sub_co_ci_u32_e64 v14, null, v22, v15, vcc_lo
	v_mov_b32_e32 v23, 0
	v_sub_co_u32 v8, vcc_lo, v3, v8
	v_sub_co_ci_u32_e64 v9, null, v14, v9, vcc_lo
	v_mov_b32_e32 v22, v23
	s_mov_b32 s61, 0
	s_branch .LBB3_44
.LBB3_42:                               ;   in Loop: Header=BB3_44 Depth=2
	s_or_b32 exec_lo, exec_lo, s3
.LBB3_43:                               ;   in Loop: Header=BB3_44 Depth=2
	s_or_b32 exec_lo, exec_lo, s62
	v_add_co_u32 v18, vcc_lo, v18, 1
	v_add_co_ci_u32_e64 v19, null, 0, v19, vcc_lo
	v_cmp_ge_i64_e32 vcc_lo, v[18:19], v[20:21]
	s_or_b32 s61, vcc_lo, s61
	s_andn2_b32 exec_lo, exec_lo, s61
	s_cbranch_execz .LBB3_2
.LBB3_44:                               ;   Parent Loop BB3_4 Depth=1
                                        ; =>  This Loop Header: Depth=2
                                        ;       Child Loop BB3_52 Depth 3
	s_and_saveexec_b32 s62, s0
	s_cbranch_execz .LBB3_43
; %bb.45:                               ;   in Loop: Header=BB3_44 Depth=2
	v_mul_lo_u32 v3, v19, s40
	v_mul_lo_u32 v28, v18, s41
	v_mad_u64_u32 v[14:15], null, v18, s40, 0
	s_mov_b32 s1, exec_lo
	v_add3_u32 v3, v15, v28, v3
	v_sub_co_u32 v28, vcc_lo, v12, v14
                                        ; implicit-def: $vgpr14_vgpr15
	v_sub_co_ci_u32_e64 v29, null, v13, v3, vcc_lo
	v_or_b32_e32 v3, s45, v29
	v_cmpx_ne_u64_e32 0, v[2:3]
	s_xor_b32 s56, exec_lo, s1
	s_cbranch_execz .LBB3_47
; %bb.46:                               ;   in Loop: Header=BB3_44 Depth=2
	s_ashr_i32 s2, s45, 31
	v_ashrrev_i32_e32 v34, 31, v29
	s_add_u32 s54, s44, s2
	s_mov_b32 s3, s2
	s_addc_u32 s55, s45, s2
	s_xor_b64 s[54:55], s[54:55], s[2:3]
	v_add_co_u32 v15, vcc_lo, v28, v34
	v_cvt_f32_u32_e32 v3, s54
	v_cvt_f32_u32_e32 v14, s55
	s_sub_u32 s57, 0, s54
	s_subb_u32 s63, 0, s55
	v_add_co_ci_u32_e64 v30, null, v29, v34, vcc_lo
	v_fmac_f32_e32 v3, 0x4f800000, v14
	v_xor_b32_e32 v35, v30, v34
	v_rcp_f32_e32 v3, v3
	v_mul_f32_e32 v3, 0x5f7ffffc, v3
	v_mul_f32_e32 v14, 0x2f800000, v3
	v_trunc_f32_e32 v14, v14
	v_fmac_f32_e32 v3, 0xcf800000, v14
	v_cvt_u32_f32_e32 v14, v14
	v_cvt_u32_f32_e32 v3, v3
	v_readfirstlane_b32 s1, v14
	v_readfirstlane_b32 s3, v3
	s_mul_i32 s64, s57, s1
	v_xor_b32_e32 v3, v15, v34
	s_mul_hi_u32 s66, s57, s3
	s_mul_i32 s65, s63, s3
	s_add_i32 s64, s66, s64
	s_mul_i32 s67, s57, s3
	s_add_i32 s64, s64, s65
	s_mul_hi_u32 s66, s3, s67
	s_mul_i32 s69, s3, s64
	s_mul_hi_u32 s68, s1, s67
	s_mul_i32 s65, s1, s67
	s_mul_hi_u32 s67, s3, s64
	s_add_u32 s66, s66, s69
	s_addc_u32 s67, 0, s67
	s_mul_hi_u32 s70, s1, s64
	s_add_u32 s65, s66, s65
	s_mul_i32 s64, s1, s64
	s_addc_u32 s65, s67, s68
	s_addc_u32 s66, s70, 0
	s_add_u32 s64, s65, s64
	s_addc_u32 s65, 0, s66
	s_add_u32 s3, s3, s64
	s_cselect_b32 s64, -1, 0
	s_mul_hi_u32 s66, s57, s3
	s_cmp_lg_u32 s64, 0
	s_mul_i32 s64, s57, s3
	s_addc_u32 s1, s1, s65
	s_mul_i32 s63, s63, s3
	s_mul_i32 s57, s57, s1
	s_mul_hi_u32 s65, s3, s64
	s_add_i32 s57, s66, s57
	s_mul_hi_u32 s66, s1, s64
	s_add_i32 s57, s57, s63
	s_mul_i32 s63, s1, s64
	s_mul_i32 s68, s3, s57
	s_mul_hi_u32 s67, s3, s57
	s_add_u32 s65, s65, s68
	s_addc_u32 s67, 0, s67
	s_mul_hi_u32 s64, s1, s57
	s_add_u32 s63, s65, s63
	s_mul_i32 s57, s1, s57
	s_addc_u32 s63, s67, s66
	s_addc_u32 s64, s64, 0
	s_add_u32 s57, s63, s57
	s_addc_u32 s63, 0, s64
	s_add_u32 s3, s3, s57
	s_cselect_b32 s57, -1, 0
	v_mul_hi_u32 v37, v3, s3
	s_cmp_lg_u32 s57, 0
	v_mad_u64_u32 v[30:31], null, v35, s3, 0
	s_addc_u32 s1, s1, s63
	v_mad_u64_u32 v[14:15], null, v3, s1, 0
	v_mad_u64_u32 v[32:33], null, v35, s1, 0
	v_add_co_u32 v14, vcc_lo, v37, v14
	v_add_co_ci_u32_e64 v15, null, 0, v15, vcc_lo
	v_add_co_u32 v14, vcc_lo, v14, v30
	v_add_co_ci_u32_e32 v14, vcc_lo, v15, v31, vcc_lo
	v_add_co_ci_u32_e32 v15, vcc_lo, 0, v33, vcc_lo
	v_add_co_u32 v30, vcc_lo, v14, v32
	v_add_co_ci_u32_e64 v31, null, 0, v15, vcc_lo
	v_mul_lo_u32 v32, s55, v30
	v_mad_u64_u32 v[14:15], null, s54, v30, 0
	v_mul_lo_u32 v33, s54, v31
	v_sub_co_u32 v3, vcc_lo, v3, v14
	v_add3_u32 v15, v15, v33, v32
	v_sub_nc_u32_e32 v32, v35, v15
	v_sub_co_ci_u32_e64 v15, null, v35, v15, vcc_lo
	v_subrev_co_ci_u32_e64 v14, null, s55, v32, vcc_lo
	v_add_co_u32 v32, s1, v30, 2
	v_add_co_ci_u32_e64 v33, null, 0, v31, s1
	v_sub_co_u32 v37, s1, v3, s54
	v_subrev_co_ci_u32_e64 v14, null, 0, v14, s1
	v_cmp_le_u32_e32 vcc_lo, s54, v37
	v_cndmask_b32_e64 v35, 0, -1, vcc_lo
	v_cmp_le_u32_e32 vcc_lo, s55, v14
	v_cndmask_b32_e64 v37, 0, -1, vcc_lo
	v_cmp_le_u32_e32 vcc_lo, s54, v3
	v_cndmask_b32_e64 v3, 0, -1, vcc_lo
	v_cmp_le_u32_e32 vcc_lo, s55, v15
	v_cndmask_b32_e64 v38, 0, -1, vcc_lo
	v_cmp_eq_u32_e32 vcc_lo, s55, v14
	v_cndmask_b32_e32 v14, v37, v35, vcc_lo
	v_add_co_u32 v35, vcc_lo, v30, 1
	v_add_co_ci_u32_e64 v37, null, 0, v31, vcc_lo
	v_cmp_eq_u32_e32 vcc_lo, s55, v15
	v_xor_b32_e32 v15, s2, v34
	v_cndmask_b32_e32 v3, v38, v3, vcc_lo
	v_cmp_ne_u32_e32 vcc_lo, 0, v14
	v_cmp_ne_u32_e64 s1, 0, v3
	v_cndmask_b32_e32 v3, v35, v32, vcc_lo
	v_cndmask_b32_e32 v14, v37, v33, vcc_lo
	v_cndmask_b32_e64 v3, v30, v3, s1
	v_cndmask_b32_e64 v14, v31, v14, s1
	v_xor_b32_e32 v3, v3, v15
	v_xor_b32_e32 v30, v14, v15
	v_sub_co_u32 v14, vcc_lo, v3, v15
	v_sub_co_ci_u32_e64 v15, null, v30, v15, vcc_lo
.LBB3_47:                               ;   in Loop: Header=BB3_44 Depth=2
	s_andn2_saveexec_b32 s1, s56
	s_cbranch_execz .LBB3_49
; %bb.48:                               ;   in Loop: Header=BB3_44 Depth=2
	v_cvt_f32_u32_e32 v3, s44
	s_sub_i32 s2, 0, s44
	v_rcp_iflag_f32_e32 v3, v3
	v_mul_f32_e32 v3, 0x4f7ffffe, v3
	v_cvt_u32_f32_e32 v3, v3
	v_mul_lo_u32 v14, s2, v3
	v_mul_hi_u32 v14, v3, v14
	v_add_nc_u32_e32 v3, v3, v14
	v_mul_hi_u32 v3, v28, v3
	v_mul_lo_u32 v14, v3, s44
	v_add_nc_u32_e32 v15, 1, v3
	v_sub_nc_u32_e32 v14, v28, v14
	v_subrev_nc_u32_e32 v30, s44, v14
	v_cmp_le_u32_e32 vcc_lo, s44, v14
	v_cndmask_b32_e32 v14, v14, v30, vcc_lo
	v_cndmask_b32_e32 v3, v3, v15, vcc_lo
	v_cmp_le_u32_e32 vcc_lo, s44, v14
	v_add_nc_u32_e32 v15, 1, v3
	v_cndmask_b32_e32 v14, v3, v15, vcc_lo
	v_mov_b32_e32 v15, v2
.LBB3_49:                               ;   in Loop: Header=BB3_44 Depth=2
	s_or_b32 exec_lo, exec_lo, s1
	v_mul_lo_u32 v3, v15, s44
	v_mul_lo_u32 v32, v14, s45
	v_mad_u64_u32 v[30:31], null, v14, s44, 0
	v_add_co_u32 v14, vcc_lo, v14, v16
	v_add_co_ci_u32_e64 v15, null, v15, v17, vcc_lo
	s_mov_b32 s3, 0
	v_add3_u32 v3, v31, v32, v3
	v_mul_lo_u32 v31, v15, s22
	v_mul_lo_u32 v32, v14, s23
	v_mad_u64_u32 v[14:15], null, v14, s22, 0
	v_sub_co_u32 v28, vcc_lo, v28, v30
	v_sub_co_ci_u32_e64 v29, null, v29, v3, vcc_lo
	v_add3_u32 v15, v15, v32, v31
	v_cmp_eq_u64_e64 s1, 0, v[28:29]
	v_mov_b32_e32 v29, v9
	v_mov_b32_e32 v31, v27
	;; [unrolled: 1-line block ×6, first 2 shown]
	s_branch .LBB3_52
.LBB3_50:                               ;   in Loop: Header=BB3_52 Depth=3
	s_or_b32 exec_lo, exec_lo, s2
.LBB3_51:                               ;   in Loop: Header=BB3_52 Depth=3
	s_or_b32 exec_lo, exec_lo, s63
	v_add_co_u32 v32, vcc_lo, v32, 1
	v_add_co_ci_u32_e64 v33, null, 0, v33, vcc_lo
	v_add_co_u32 v30, vcc_lo, v30, 8
	v_add_co_ci_u32_e64 v31, null, 0, v31, vcc_lo
	v_cmp_ge_i64_e32 vcc_lo, v[32:33], v[24:25]
	v_sub_co_u32 v28, s2, v28, s42
	v_subrev_co_ci_u32_e64 v29, null, s43, v29, s2
	s_or_b32 s3, vcc_lo, s3
	s_andn2_b32 exec_lo, exec_lo, s3
	s_cbranch_execz .LBB3_42
.LBB3_52:                               ;   Parent Loop BB3_4 Depth=1
                                        ;     Parent Loop BB3_44 Depth=2
                                        ; =>    This Inner Loop Header: Depth=3
	s_and_saveexec_b32 s63, s1
	s_cbranch_execz .LBB3_51
; %bb.53:                               ;   in Loop: Header=BB3_52 Depth=3
	v_or_b32_e32 v3, s47, v29
                                        ; implicit-def: $vgpr34_vgpr35
	s_mov_b32 s2, exec_lo
	v_cmpx_ne_u64_e32 0, v[2:3]
	s_xor_b32 s64, exec_lo, s2
	s_cbranch_execz .LBB3_55
; %bb.54:                               ;   in Loop: Header=BB3_52 Depth=3
	s_ashr_i32 s54, s47, 31
	v_ashrrev_i32_e32 v41, 31, v29
	s_add_u32 s56, s46, s54
	s_mov_b32 s55, s54
	s_addc_u32 s57, s47, s54
	s_xor_b64 s[56:57], s[56:57], s[54:55]
	v_add_co_u32 v35, vcc_lo, v28, v41
	v_cvt_f32_u32_e32 v3, s56
	v_cvt_f32_u32_e32 v34, s57
	s_sub_u32 s65, 0, s56
	s_subb_u32 s66, 0, s57
	v_add_co_ci_u32_e64 v37, null, v29, v41, vcc_lo
	v_fmac_f32_e32 v3, 0x4f800000, v34
	v_xor_b32_e32 v42, v37, v41
	v_rcp_f32_e32 v3, v3
	v_mul_f32_e32 v3, 0x5f7ffffc, v3
	v_mul_f32_e32 v34, 0x2f800000, v3
	v_trunc_f32_e32 v34, v34
	v_fmac_f32_e32 v3, 0xcf800000, v34
	v_cvt_u32_f32_e32 v34, v34
	v_cvt_u32_f32_e32 v3, v3
	v_readfirstlane_b32 s2, v34
	v_readfirstlane_b32 s55, v3
	s_mul_i32 s67, s65, s2
	v_xor_b32_e32 v3, v35, v41
	s_mul_hi_u32 s69, s65, s55
	s_mul_i32 s68, s66, s55
	s_add_i32 s67, s69, s67
	s_mul_i32 s70, s65, s55
	s_add_i32 s67, s67, s68
	s_mul_hi_u32 s69, s55, s70
	s_mul_i32 s72, s55, s67
	s_mul_hi_u32 s71, s2, s70
	s_mul_i32 s68, s2, s70
	s_mul_hi_u32 s70, s55, s67
	s_add_u32 s69, s69, s72
	s_addc_u32 s70, 0, s70
	s_mul_hi_u32 s73, s2, s67
	s_add_u32 s68, s69, s68
	s_mul_i32 s67, s2, s67
	s_addc_u32 s68, s70, s71
	s_addc_u32 s69, s73, 0
	s_add_u32 s67, s68, s67
	s_addc_u32 s68, 0, s69
	s_add_u32 s55, s55, s67
	s_cselect_b32 s67, -1, 0
	s_mul_hi_u32 s69, s65, s55
	s_cmp_lg_u32 s67, 0
	s_mul_i32 s67, s65, s55
	s_addc_u32 s2, s2, s68
	s_mul_i32 s66, s66, s55
	s_mul_i32 s65, s65, s2
	s_mul_hi_u32 s68, s55, s67
	s_add_i32 s65, s69, s65
	s_mul_hi_u32 s69, s2, s67
	s_add_i32 s65, s65, s66
	s_mul_i32 s66, s2, s67
	s_mul_i32 s71, s55, s65
	s_mul_hi_u32 s70, s55, s65
	s_add_u32 s68, s68, s71
	s_addc_u32 s70, 0, s70
	s_mul_hi_u32 s67, s2, s65
	s_add_u32 s66, s68, s66
	s_mul_i32 s65, s2, s65
	s_addc_u32 s66, s70, s69
	s_addc_u32 s67, s67, 0
	s_add_u32 s65, s66, s65
	s_addc_u32 s66, 0, s67
	s_add_u32 s55, s55, s65
	s_cselect_b32 s65, -1, 0
	v_mul_hi_u32 v43, v3, s55
	s_cmp_lg_u32 s65, 0
	v_mad_u64_u32 v[37:38], null, v42, s55, 0
	s_addc_u32 s2, s2, s66
	v_mad_u64_u32 v[34:35], null, v3, s2, 0
	v_mad_u64_u32 v[39:40], null, v42, s2, 0
	v_add_co_u32 v34, vcc_lo, v43, v34
	v_add_co_ci_u32_e64 v35, null, 0, v35, vcc_lo
	v_add_co_u32 v34, vcc_lo, v34, v37
	v_add_co_ci_u32_e32 v34, vcc_lo, v35, v38, vcc_lo
	v_add_co_ci_u32_e32 v35, vcc_lo, 0, v40, vcc_lo
	v_add_co_u32 v37, vcc_lo, v34, v39
	v_add_co_ci_u32_e64 v38, null, 0, v35, vcc_lo
	v_mul_lo_u32 v39, s57, v37
	v_mad_u64_u32 v[34:35], null, s56, v37, 0
	v_mul_lo_u32 v40, s56, v38
	v_sub_co_u32 v3, vcc_lo, v3, v34
	v_add3_u32 v35, v35, v40, v39
	v_sub_nc_u32_e32 v39, v42, v35
	v_sub_co_ci_u32_e64 v35, null, v42, v35, vcc_lo
	v_subrev_co_ci_u32_e64 v34, null, s57, v39, vcc_lo
	v_add_co_u32 v39, s2, v37, 2
	v_add_co_ci_u32_e64 v40, null, 0, v38, s2
	v_sub_co_u32 v43, s2, v3, s56
	v_subrev_co_ci_u32_e64 v34, null, 0, v34, s2
	v_cmp_le_u32_e32 vcc_lo, s56, v43
	v_cndmask_b32_e64 v42, 0, -1, vcc_lo
	v_cmp_le_u32_e32 vcc_lo, s57, v34
	v_cndmask_b32_e64 v43, 0, -1, vcc_lo
	;; [unrolled: 2-line block ×4, first 2 shown]
	v_cmp_eq_u32_e32 vcc_lo, s57, v34
	v_cndmask_b32_e32 v34, v43, v42, vcc_lo
	v_add_co_u32 v42, vcc_lo, v37, 1
	v_add_co_ci_u32_e64 v43, null, 0, v38, vcc_lo
	v_cmp_eq_u32_e32 vcc_lo, s57, v35
	v_xor_b32_e32 v35, s54, v41
	v_cndmask_b32_e32 v3, v44, v3, vcc_lo
	v_cmp_ne_u32_e32 vcc_lo, 0, v34
	v_cmp_ne_u32_e64 s2, 0, v3
	v_cndmask_b32_e32 v3, v42, v39, vcc_lo
	v_cndmask_b32_e32 v34, v43, v40, vcc_lo
	v_cndmask_b32_e64 v3, v37, v3, s2
	v_cndmask_b32_e64 v34, v38, v34, s2
	v_xor_b32_e32 v3, v3, v35
	v_xor_b32_e32 v37, v34, v35
	v_sub_co_u32 v34, vcc_lo, v3, v35
	v_sub_co_ci_u32_e64 v35, null, v37, v35, vcc_lo
.LBB3_55:                               ;   in Loop: Header=BB3_52 Depth=3
	s_andn2_saveexec_b32 s2, s64
	s_cbranch_execz .LBB3_57
; %bb.56:                               ;   in Loop: Header=BB3_52 Depth=3
	v_cvt_f32_u32_e32 v3, s46
	s_sub_i32 s54, 0, s46
	v_rcp_iflag_f32_e32 v3, v3
	v_mul_f32_e32 v3, 0x4f7ffffe, v3
	v_cvt_u32_f32_e32 v3, v3
	v_mul_lo_u32 v34, s54, v3
	v_mul_hi_u32 v34, v3, v34
	v_add_nc_u32_e32 v3, v3, v34
	v_mul_hi_u32 v3, v28, v3
	v_mul_lo_u32 v34, v3, s46
	v_add_nc_u32_e32 v35, 1, v3
	v_sub_nc_u32_e32 v34, v28, v34
	v_subrev_nc_u32_e32 v37, s46, v34
	v_cmp_le_u32_e32 vcc_lo, s46, v34
	v_cndmask_b32_e32 v34, v34, v37, vcc_lo
	v_cndmask_b32_e32 v3, v3, v35, vcc_lo
	v_cmp_le_u32_e32 vcc_lo, s46, v34
	v_add_nc_u32_e32 v35, 1, v3
	v_cndmask_b32_e32 v34, v3, v35, vcc_lo
	v_mov_b32_e32 v35, v2
.LBB3_57:                               ;   in Loop: Header=BB3_52 Depth=3
	s_or_b32 exec_lo, exec_lo, s2
	v_mul_lo_u32 v3, v35, s46
	v_mul_lo_u32 v39, v34, s47
	v_mad_u64_u32 v[37:38], null, v34, s46, 0
	s_mov_b32 s2, exec_lo
	v_add3_u32 v3, v38, v39, v3
	v_sub_co_u32 v37, vcc_lo, v28, v37
	v_sub_co_ci_u32_e64 v38, null, v29, v3, vcc_lo
	v_cmpx_eq_u64_e32 0, v[37:38]
	s_cbranch_execz .LBB3_50
; %bb.58:                               ;   in Loop: Header=BB3_52 Depth=3
	v_add_co_u32 v3, vcc_lo, v14, v34
	v_add_co_ci_u32_e64 v34, null, v15, v35, vcc_lo
	v_mul_lo_u32 v37, v3, s49
	v_mul_lo_u32 v38, v34, s48
	v_mad_u64_u32 v[34:35], null, v3, s48, v[18:19]
	v_add3_u32 v3, v38, v35, v37
	v_mul_lo_u32 v37, s29, v34
	v_mad_u64_u32 v[34:35], null, s28, v34, v[30:31]
	v_mul_lo_u32 v3, s28, v3
	v_add3_u32 v35, v37, v35, v3
	global_load_dwordx2 v[34:35], v[34:35], off
	s_waitcnt vmcnt(0)
	v_add_f32_e32 v22, v22, v34
	v_add_f32_e32 v23, v23, v35
	s_branch .LBB3_50
.LBB3_59:
	s_endpgm
	.section	.rodata,"a",@progbits
	.p2align	6, 0x0
	.amdhsa_kernel _ZN2at6native21col2im_batched_kernelIN3c107complexIfEEEEvlPKT_llllllllllllllPS5_l
		.amdhsa_group_segment_fixed_size 0
		.amdhsa_private_segment_fixed_size 0
		.amdhsa_kernarg_size 400
		.amdhsa_user_sgpr_count 6
		.amdhsa_user_sgpr_private_segment_buffer 1
		.amdhsa_user_sgpr_dispatch_ptr 0
		.amdhsa_user_sgpr_queue_ptr 0
		.amdhsa_user_sgpr_kernarg_segment_ptr 1
		.amdhsa_user_sgpr_dispatch_id 0
		.amdhsa_user_sgpr_flat_scratch_init 0
		.amdhsa_user_sgpr_private_segment_size 0
		.amdhsa_wavefront_size32 1
		.amdhsa_uses_dynamic_stack 0
		.amdhsa_system_sgpr_private_segment_wavefront_offset 0
		.amdhsa_system_sgpr_workgroup_id_x 1
		.amdhsa_system_sgpr_workgroup_id_y 0
		.amdhsa_system_sgpr_workgroup_id_z 0
		.amdhsa_system_sgpr_workgroup_info 0
		.amdhsa_system_vgpr_workitem_id 0
		.amdhsa_next_free_vgpr 45
		.amdhsa_next_free_sgpr 74
		.amdhsa_reserve_vcc 1
		.amdhsa_reserve_flat_scratch 0
		.amdhsa_float_round_mode_32 0
		.amdhsa_float_round_mode_16_64 0
		.amdhsa_float_denorm_mode_32 3
		.amdhsa_float_denorm_mode_16_64 3
		.amdhsa_dx10_clamp 1
		.amdhsa_ieee_mode 1
		.amdhsa_fp16_overflow 0
		.amdhsa_workgroup_processor_mode 1
		.amdhsa_memory_ordered 1
		.amdhsa_forward_progress 1
		.amdhsa_shared_vgpr_count 0
		.amdhsa_exception_fp_ieee_invalid_op 0
		.amdhsa_exception_fp_denorm_src 0
		.amdhsa_exception_fp_ieee_div_zero 0
		.amdhsa_exception_fp_ieee_overflow 0
		.amdhsa_exception_fp_ieee_underflow 0
		.amdhsa_exception_fp_ieee_inexact 0
		.amdhsa_exception_int_div_zero 0
	.end_amdhsa_kernel
	.section	.text._ZN2at6native21col2im_batched_kernelIN3c107complexIfEEEEvlPKT_llllllllllllllPS5_l,"axG",@progbits,_ZN2at6native21col2im_batched_kernelIN3c107complexIfEEEEvlPKT_llllllllllllllPS5_l,comdat
.Lfunc_end3:
	.size	_ZN2at6native21col2im_batched_kernelIN3c107complexIfEEEEvlPKT_llllllllllllllPS5_l, .Lfunc_end3-_ZN2at6native21col2im_batched_kernelIN3c107complexIfEEEEvlPKT_llllllllllllllPS5_l
                                        ; -- End function
	.set _ZN2at6native21col2im_batched_kernelIN3c107complexIfEEEEvlPKT_llllllllllllllPS5_l.num_vgpr, 45
	.set _ZN2at6native21col2im_batched_kernelIN3c107complexIfEEEEvlPKT_llllllllllllllPS5_l.num_agpr, 0
	.set _ZN2at6native21col2im_batched_kernelIN3c107complexIfEEEEvlPKT_llllllllllllllPS5_l.numbered_sgpr, 74
	.set _ZN2at6native21col2im_batched_kernelIN3c107complexIfEEEEvlPKT_llllllllllllllPS5_l.num_named_barrier, 0
	.set _ZN2at6native21col2im_batched_kernelIN3c107complexIfEEEEvlPKT_llllllllllllllPS5_l.private_seg_size, 0
	.set _ZN2at6native21col2im_batched_kernelIN3c107complexIfEEEEvlPKT_llllllllllllllPS5_l.uses_vcc, 1
	.set _ZN2at6native21col2im_batched_kernelIN3c107complexIfEEEEvlPKT_llllllllllllllPS5_l.uses_flat_scratch, 0
	.set _ZN2at6native21col2im_batched_kernelIN3c107complexIfEEEEvlPKT_llllllllllllllPS5_l.has_dyn_sized_stack, 0
	.set _ZN2at6native21col2im_batched_kernelIN3c107complexIfEEEEvlPKT_llllllllllllllPS5_l.has_recursion, 0
	.set _ZN2at6native21col2im_batched_kernelIN3c107complexIfEEEEvlPKT_llllllllllllllPS5_l.has_indirect_call, 0
	.section	.AMDGPU.csdata,"",@progbits
; Kernel info:
; codeLenInByte = 8972
; TotalNumSgprs: 76
; NumVgprs: 45
; ScratchSize: 0
; MemoryBound: 0
; FloatMode: 240
; IeeeMode: 1
; LDSByteSize: 0 bytes/workgroup (compile time only)
; SGPRBlocks: 0
; VGPRBlocks: 5
; NumSGPRsForWavesPerEU: 76
; NumVGPRsForWavesPerEU: 45
; Occupancy: 16
; WaveLimiterHint : 0
; COMPUTE_PGM_RSRC2:SCRATCH_EN: 0
; COMPUTE_PGM_RSRC2:USER_SGPR: 6
; COMPUTE_PGM_RSRC2:TRAP_HANDLER: 0
; COMPUTE_PGM_RSRC2:TGID_X_EN: 1
; COMPUTE_PGM_RSRC2:TGID_Y_EN: 0
; COMPUTE_PGM_RSRC2:TGID_Z_EN: 0
; COMPUTE_PGM_RSRC2:TIDIG_COMP_CNT: 0
	.section	.text._ZN2at6native21col2im_batched_kernelIN3c104HalfEEEvlPKT_llllllllllllllPS4_l,"axG",@progbits,_ZN2at6native21col2im_batched_kernelIN3c104HalfEEEvlPKT_llllllllllllllPS4_l,comdat
	.protected	_ZN2at6native21col2im_batched_kernelIN3c104HalfEEEvlPKT_llllllllllllllPS4_l ; -- Begin function _ZN2at6native21col2im_batched_kernelIN3c104HalfEEEvlPKT_llllllllllllllPS4_l
	.globl	_ZN2at6native21col2im_batched_kernelIN3c104HalfEEEvlPKT_llllllllllllllPS4_l
	.p2align	8
	.type	_ZN2at6native21col2im_batched_kernelIN3c104HalfEEEvlPKT_llllllllllllllPS4_l,@function
_ZN2at6native21col2im_batched_kernelIN3c104HalfEEEvlPKT_llllllllllllllPS4_l: ; @_ZN2at6native21col2im_batched_kernelIN3c104HalfEEEvlPKT_llllllllllllllPS4_l
; %bb.0:
	s_clause 0x1
	s_load_dwordx16 s[8:23], s[4:5], 0x0
	s_load_dword s2, s[4:5], 0x9c
	v_mov_b32_e32 v2, 0
	v_mov_b32_e32 v1, v2
	s_waitcnt lgkmcnt(0)
	s_mul_i32 s0, s14, s9
	s_mul_hi_u32 s1, s14, s8
	s_mul_i32 s3, s15, s8
	s_add_i32 s0, s1, s0
	s_mul_i32 s14, s14, s8
	s_add_i32 s15, s0, s3
	s_add_u32 s0, s4, 0x90
	s_addc_u32 s1, s5, 0
	s_and_b32 s2, s2, 0xffff
	s_mov_b32 s3, exec_lo
	v_mad_u64_u32 v[0:1], null, s2, s6, v[0:1]
	v_cmpx_gt_i64_e64 s[14:15], v[0:1]
	s_cbranch_execz .LBB4_59
; %bb.1:
	s_load_dwordx16 s[36:51], s[4:5], 0x40
	s_load_dword s0, s[0:1], 0x0
	v_cvt_f32_u32_e32 v3, s8
	s_mul_i32 s1, s18, s17
	s_mul_hi_u32 s3, s18, s16
	s_mul_i32 s24, s19, s16
	s_add_i32 s1, s3, s1
	s_load_dwordx4 s[4:7], s[4:5], 0x80
	v_rcp_iflag_f32_e32 v3, v3
	s_add_i32 s59, s1, s24
	s_add_u32 s1, s22, -1
	s_addc_u32 s3, s23, -1
	s_mul_i32 s33, s18, s16
	s_mov_b32 s58, 0
	v_mul_f32_e32 v3, 0x4f7ffffe, v3
	s_waitcnt lgkmcnt(0)
	s_mul_i32 s3, s46, s3
	s_mul_hi_u32 s25, s46, s1
	s_mul_i32 s26, s47, s1
	s_mul_i32 s60, s0, s2
	s_add_i32 s0, s25, s3
	s_mul_i32 s24, s46, s1
	s_add_i32 s25, s0, s26
	s_add_u32 s0, s20, -1
	s_addc_u32 s1, s21, -1
	s_mul_hi_u32 s2, s44, s0
	s_mul_i32 s1, s44, s1
	s_mul_i32 s3, s45, s0
	s_add_i32 s1, s2, s1
	v_cvt_u32_f32_e32 v34, v3
	s_mul_i32 s30, s44, s0
	s_add_i32 s31, s1, s3
	s_not_b64 s[26:27], s[24:25]
	s_lshl_b64 s[28:29], s[50:51], 1
	s_lshl_b64 s[12:13], s[12:13], 1
	s_not_b64 s[34:35], s[30:31]
	s_ashr_i32 s52, s9, 31
	s_branch .LBB4_4
.LBB4_2:                                ;   in Loop: Header=BB4_4 Depth=1
	s_or_b32 exec_lo, exec_lo, s61
	v_cvt_f16_f32_e32 v3, v35
.LBB4_3:                                ;   in Loop: Header=BB4_4 Depth=1
	s_or_b32 exec_lo, exec_lo, s53
	v_mul_lo_u32 v8, v5, s6
	v_mul_lo_u32 v9, v4, s7
	v_mad_u64_u32 v[4:5], null, v4, s6, 0
	v_add_co_u32 v0, vcc_lo, v0, s60
	v_lshlrev_b64 v[6:7], 1, v[6:7]
	v_add_co_ci_u32_e64 v1, null, 0, v1, vcc_lo
	v_add3_u32 v5, v5, v9, v8
	v_lshlrev_b64 v[4:5], 1, v[4:5]
	v_add_co_u32 v4, vcc_lo, s4, v4
	v_add_co_ci_u32_e64 v5, null, s5, v5, vcc_lo
	v_cmp_le_i64_e32 vcc_lo, s[14:15], v[0:1]
	v_add_co_u32 v4, s0, v4, v6
	v_add_co_ci_u32_e64 v5, null, v5, v7, s0
	s_or_b32 s58, vcc_lo, s58
	global_store_short v[4:5], v3, off
	s_andn2_b32 exec_lo, exec_lo, s58
	s_cbranch_execz .LBB4_59
.LBB4_4:                                ; =>This Loop Header: Depth=1
                                        ;     Child Loop BB4_44 Depth 2
                                        ;       Child Loop BB4_52 Depth 3
	v_or_b32_e32 v3, s9, v1
                                        ; implicit-def: $vgpr4_vgpr5
	s_mov_b32 s0, exec_lo
	v_cmpx_ne_u64_e32 0, v[2:3]
	s_xor_b32 s1, exec_lo, s0
	s_cbranch_execz .LBB4_6
; %bb.5:                                ;   in Loop: Header=BB4_4 Depth=1
	s_add_u32 s2, s8, s52
	s_mov_b32 s53, s52
	s_addc_u32 s3, s9, s52
	v_ashrrev_i32_e32 v9, 31, v1
	s_xor_b64 s[2:3], s[2:3], s[52:53]
	v_cvt_f32_u32_e32 v3, s2
	v_cvt_f32_u32_e32 v4, s3
	s_sub_u32 s0, 0, s2
	s_subb_u32 s55, 0, s3
	v_add_co_u32 v5, vcc_lo, v0, v9
	v_fmac_f32_e32 v3, 0x4f800000, v4
	v_xor_b32_e32 v10, v5, v9
	v_rcp_f32_e32 v3, v3
	v_mul_f32_e32 v3, 0x5f7ffffc, v3
	v_mul_f32_e32 v4, 0x2f800000, v3
	v_trunc_f32_e32 v4, v4
	v_fmac_f32_e32 v3, 0xcf800000, v4
	v_cvt_u32_f32_e32 v4, v4
	v_cvt_u32_f32_e32 v3, v3
	v_readfirstlane_b32 s53, v4
	v_readfirstlane_b32 s54, v3
	s_mul_i32 s56, s0, s53
	v_add_co_ci_u32_e64 v3, null, v1, v9, vcc_lo
	s_mul_hi_u32 s61, s0, s54
	s_mul_i32 s57, s55, s54
	s_add_i32 s56, s61, s56
	s_mul_i32 s62, s0, s54
	s_add_i32 s56, s56, s57
	s_mul_hi_u32 s61, s54, s62
	s_mul_i32 s64, s54, s56
	s_mul_hi_u32 s63, s53, s62
	s_mul_i32 s57, s53, s62
	s_mul_hi_u32 s62, s54, s56
	s_add_u32 s61, s61, s64
	s_addc_u32 s62, 0, s62
	s_mul_hi_u32 s65, s53, s56
	s_add_u32 s57, s61, s57
	s_mul_i32 s56, s53, s56
	s_addc_u32 s57, s62, s63
	s_addc_u32 s61, s65, 0
	s_add_u32 s56, s57, s56
	s_addc_u32 s57, 0, s61
	s_add_u32 s54, s54, s56
	s_cselect_b32 s56, -1, 0
	s_mul_hi_u32 s61, s0, s54
	s_cmp_lg_u32 s56, 0
	s_mul_i32 s56, s0, s54
	s_addc_u32 s53, s53, s57
	s_mul_i32 s55, s55, s54
	s_mul_i32 s0, s0, s53
	s_mul_hi_u32 s57, s54, s56
	s_add_i32 s0, s61, s0
	s_mul_hi_u32 s61, s53, s56
	s_add_i32 s0, s0, s55
	s_mul_i32 s55, s53, s56
	s_mul_i32 s63, s54, s0
	s_mul_hi_u32 s62, s54, s0
	s_add_u32 s57, s57, s63
	s_addc_u32 s62, 0, s62
	s_mul_hi_u32 s56, s53, s0
	s_add_u32 s55, s57, s55
	s_mul_i32 s0, s53, s0
	s_addc_u32 s55, s62, s61
	s_addc_u32 s56, s56, 0
	s_add_u32 s0, s55, s0
	s_addc_u32 s55, 0, s56
	s_add_u32 s0, s54, s0
	s_cselect_b32 s54, -1, 0
	v_xor_b32_e32 v11, v3, v9
	s_cmp_lg_u32 s54, 0
	v_mul_hi_u32 v12, v10, s0
	s_addc_u32 s53, s53, s55
	v_mad_u64_u32 v[3:4], null, v10, s53, 0
	v_mad_u64_u32 v[5:6], null, v11, s0, 0
	;; [unrolled: 1-line block ×3, first 2 shown]
	v_add_co_u32 v3, vcc_lo, v12, v3
	v_add_co_ci_u32_e64 v4, null, 0, v4, vcc_lo
	v_add_co_u32 v3, vcc_lo, v3, v5
	v_add_co_ci_u32_e32 v3, vcc_lo, v4, v6, vcc_lo
	v_add_co_ci_u32_e32 v4, vcc_lo, 0, v8, vcc_lo
	v_add_co_u32 v5, vcc_lo, v3, v7
	v_add_co_ci_u32_e64 v6, null, 0, v4, vcc_lo
	v_mul_lo_u32 v7, s3, v5
	v_mad_u64_u32 v[3:4], null, s2, v5, 0
	v_mul_lo_u32 v8, s2, v6
	v_sub_co_u32 v3, vcc_lo, v10, v3
	v_add3_u32 v4, v4, v8, v7
	v_add_co_u32 v8, s0, v5, 2
	v_add_co_ci_u32_e64 v10, null, 0, v6, s0
	v_sub_nc_u32_e32 v7, v11, v4
	v_sub_co_u32 v12, s0, v3, s2
	v_sub_co_ci_u32_e64 v4, null, v11, v4, vcc_lo
	v_subrev_co_ci_u32_e64 v7, null, s3, v7, vcc_lo
	v_cmp_le_u32_e32 vcc_lo, s2, v12
	v_subrev_co_ci_u32_e64 v7, null, 0, v7, s0
	v_cndmask_b32_e64 v11, 0, -1, vcc_lo
	v_cmp_le_u32_e32 vcc_lo, s3, v7
	v_cndmask_b32_e64 v12, 0, -1, vcc_lo
	v_cmp_le_u32_e32 vcc_lo, s2, v3
	;; [unrolled: 2-line block ×3, first 2 shown]
	v_cndmask_b32_e64 v13, 0, -1, vcc_lo
	v_cmp_eq_u32_e32 vcc_lo, s3, v7
	v_cndmask_b32_e32 v7, v12, v11, vcc_lo
	v_add_co_u32 v11, vcc_lo, v5, 1
	v_add_co_ci_u32_e64 v12, null, 0, v6, vcc_lo
	v_cmp_eq_u32_e32 vcc_lo, s3, v4
	v_cndmask_b32_e32 v3, v13, v3, vcc_lo
	v_cmp_ne_u32_e32 vcc_lo, 0, v7
	v_xor_b32_e32 v7, s52, v9
	v_cmp_ne_u32_e64 s0, 0, v3
	v_cndmask_b32_e32 v3, v11, v8, vcc_lo
	v_cndmask_b32_e32 v4, v12, v10, vcc_lo
	v_cndmask_b32_e64 v3, v5, v3, s0
	v_cndmask_b32_e64 v4, v6, v4, s0
	v_xor_b32_e32 v3, v3, v7
	v_xor_b32_e32 v5, v4, v7
	v_sub_co_u32 v4, vcc_lo, v3, v7
	v_sub_co_ci_u32_e64 v5, null, v5, v7, vcc_lo
.LBB4_6:                                ;   in Loop: Header=BB4_4 Depth=1
	s_andn2_saveexec_b32 s0, s1
	s_cbranch_execz .LBB4_8
; %bb.7:                                ;   in Loop: Header=BB4_4 Depth=1
	s_sub_i32 s1, 0, s8
	v_mul_lo_u32 v3, s1, v34
	v_mul_hi_u32 v3, v34, v3
	v_add_nc_u32_e32 v3, v34, v3
	v_mul_hi_u32 v3, v0, v3
	v_mul_lo_u32 v4, v3, s8
	v_add_nc_u32_e32 v5, 1, v3
	v_sub_nc_u32_e32 v4, v0, v4
	v_subrev_nc_u32_e32 v6, s8, v4
	v_cmp_le_u32_e32 vcc_lo, s8, v4
	v_cndmask_b32_e32 v4, v4, v6, vcc_lo
	v_cndmask_b32_e32 v3, v3, v5, vcc_lo
	v_cmp_le_u32_e32 vcc_lo, s8, v4
	v_add_nc_u32_e32 v5, 1, v3
	v_cndmask_b32_e32 v4, v3, v5, vcc_lo
	v_mov_b32_e32 v5, v2
.LBB4_8:                                ;   in Loop: Header=BB4_4 Depth=1
	s_or_b32 exec_lo, exec_lo, s0
	v_mul_lo_u32 v3, v5, s8
	v_mul_lo_u32 v6, v4, s9
	v_mad_u64_u32 v[8:9], null, v4, s8, 0
                                        ; implicit-def: $vgpr10_vgpr11
	s_mov_b32 s0, exec_lo
	v_add3_u32 v9, v9, v6, v3
	v_sub_co_u32 v6, vcc_lo, v0, v8
	v_sub_co_ci_u32_e64 v7, null, v1, v9, vcc_lo
	v_or_b32_e32 v3, s19, v7
	v_ashrrev_i32_e32 v16, 31, v7
	v_cmpx_ne_u64_e32 0, v[2:3]
	s_xor_b32 s1, exec_lo, s0
	s_cbranch_execz .LBB4_10
; %bb.9:                                ;   in Loop: Header=BB4_4 Depth=1
	s_ashr_i32 s2, s19, 31
	v_add_co_u32 v11, vcc_lo, v6, v16
	s_add_u32 s54, s18, s2
	s_mov_b32 s3, s2
	s_addc_u32 s55, s19, s2
	v_add_co_ci_u32_e64 v12, null, v7, v16, vcc_lo
	s_xor_b64 s[54:55], s[54:55], s[2:3]
	v_cvt_f32_u32_e32 v3, s54
	v_cvt_f32_u32_e32 v10, s55
	s_sub_u32 s53, 0, s54
	s_subb_u32 s56, 0, s55
	v_xor_b32_e32 v17, v12, v16
	v_fmac_f32_e32 v3, 0x4f800000, v10
	v_rcp_f32_e32 v3, v3
	v_mul_f32_e32 v3, 0x5f7ffffc, v3
	v_mul_f32_e32 v10, 0x2f800000, v3
	v_trunc_f32_e32 v10, v10
	v_fmac_f32_e32 v3, 0xcf800000, v10
	v_cvt_u32_f32_e32 v10, v10
	v_cvt_u32_f32_e32 v3, v3
	v_readfirstlane_b32 s0, v10
	v_readfirstlane_b32 s3, v3
	s_mul_i32 s57, s53, s0
	v_xor_b32_e32 v3, v11, v16
	s_mul_hi_u32 s62, s53, s3
	s_mul_i32 s61, s56, s3
	s_add_i32 s57, s62, s57
	s_mul_i32 s63, s53, s3
	s_add_i32 s57, s57, s61
	s_mul_hi_u32 s62, s3, s63
	s_mul_i32 s65, s3, s57
	s_mul_hi_u32 s64, s0, s63
	s_mul_i32 s61, s0, s63
	s_mul_hi_u32 s63, s3, s57
	s_add_u32 s62, s62, s65
	s_addc_u32 s63, 0, s63
	s_mul_hi_u32 s66, s0, s57
	s_add_u32 s61, s62, s61
	s_mul_i32 s57, s0, s57
	s_addc_u32 s61, s63, s64
	s_addc_u32 s62, s66, 0
	s_add_u32 s57, s61, s57
	s_addc_u32 s61, 0, s62
	s_add_u32 s3, s3, s57
	s_cselect_b32 s57, -1, 0
	s_mul_hi_u32 s62, s53, s3
	s_cmp_lg_u32 s57, 0
	s_mul_i32 s57, s53, s3
	s_addc_u32 s0, s0, s61
	s_mul_i32 s56, s56, s3
	s_mul_i32 s53, s53, s0
	s_mul_hi_u32 s61, s3, s57
	s_add_i32 s53, s62, s53
	s_mul_hi_u32 s62, s0, s57
	s_add_i32 s53, s53, s56
	s_mul_i32 s56, s0, s57
	s_mul_i32 s64, s3, s53
	s_mul_hi_u32 s63, s3, s53
	s_add_u32 s61, s61, s64
	s_addc_u32 s63, 0, s63
	s_mul_hi_u32 s57, s0, s53
	s_add_u32 s56, s61, s56
	s_mul_i32 s53, s0, s53
	s_addc_u32 s56, s63, s62
	s_addc_u32 s57, s57, 0
	s_add_u32 s53, s56, s53
	s_addc_u32 s56, 0, s57
	s_add_u32 s3, s3, s53
	s_cselect_b32 s53, -1, 0
	v_mul_hi_u32 v18, v3, s3
	s_cmp_lg_u32 s53, 0
	v_mad_u64_u32 v[12:13], null, v17, s3, 0
	s_addc_u32 s0, s0, s56
	v_mad_u64_u32 v[10:11], null, v3, s0, 0
	v_mad_u64_u32 v[14:15], null, v17, s0, 0
	v_add_co_u32 v10, vcc_lo, v18, v10
	v_add_co_ci_u32_e64 v11, null, 0, v11, vcc_lo
	v_add_co_u32 v10, vcc_lo, v10, v12
	v_add_co_ci_u32_e32 v10, vcc_lo, v11, v13, vcc_lo
	v_add_co_ci_u32_e32 v11, vcc_lo, 0, v15, vcc_lo
	v_add_co_u32 v12, vcc_lo, v10, v14
	v_add_co_ci_u32_e64 v13, null, 0, v11, vcc_lo
	v_mul_lo_u32 v14, s55, v12
	v_mad_u64_u32 v[10:11], null, s54, v12, 0
	v_mul_lo_u32 v15, s54, v13
	v_sub_co_u32 v3, vcc_lo, v3, v10
	v_add3_u32 v11, v11, v15, v14
	v_sub_nc_u32_e32 v14, v17, v11
	v_sub_co_ci_u32_e64 v11, null, v17, v11, vcc_lo
	v_subrev_co_ci_u32_e64 v10, null, s55, v14, vcc_lo
	v_add_co_u32 v14, s0, v12, 2
	v_add_co_ci_u32_e64 v15, null, 0, v13, s0
	v_sub_co_u32 v18, s0, v3, s54
	v_subrev_co_ci_u32_e64 v10, null, 0, v10, s0
	v_cmp_le_u32_e32 vcc_lo, s54, v18
	v_cndmask_b32_e64 v17, 0, -1, vcc_lo
	v_cmp_le_u32_e32 vcc_lo, s55, v10
	v_cndmask_b32_e64 v18, 0, -1, vcc_lo
	;; [unrolled: 2-line block ×4, first 2 shown]
	v_cmp_eq_u32_e32 vcc_lo, s55, v10
	v_cndmask_b32_e32 v10, v18, v17, vcc_lo
	v_add_co_u32 v17, vcc_lo, v12, 1
	v_add_co_ci_u32_e64 v18, null, 0, v13, vcc_lo
	v_cmp_eq_u32_e32 vcc_lo, s55, v11
	v_xor_b32_e32 v11, s2, v16
	v_cndmask_b32_e32 v3, v19, v3, vcc_lo
	v_cmp_ne_u32_e32 vcc_lo, 0, v10
	v_cmp_ne_u32_e64 s0, 0, v3
	v_cndmask_b32_e32 v3, v17, v14, vcc_lo
	v_cndmask_b32_e32 v10, v18, v15, vcc_lo
	v_cndmask_b32_e64 v3, v12, v3, s0
	v_cndmask_b32_e64 v10, v13, v10, s0
	v_xor_b32_e32 v3, v3, v11
	v_xor_b32_e32 v12, v10, v11
	v_sub_co_u32 v10, vcc_lo, v3, v11
	v_sub_co_ci_u32_e64 v11, null, v12, v11, vcc_lo
.LBB4_10:                               ;   in Loop: Header=BB4_4 Depth=1
	s_andn2_saveexec_b32 s0, s1
	s_cbranch_execz .LBB4_12
; %bb.11:                               ;   in Loop: Header=BB4_4 Depth=1
	v_cvt_f32_u32_e32 v3, s18
	s_sub_i32 s1, 0, s18
	v_rcp_iflag_f32_e32 v3, v3
	v_mul_f32_e32 v3, 0x4f7ffffe, v3
	v_cvt_u32_f32_e32 v3, v3
	v_mul_lo_u32 v10, s1, v3
	v_mul_hi_u32 v10, v3, v10
	v_add_nc_u32_e32 v3, v3, v10
	v_mul_hi_u32 v3, v6, v3
	v_mul_lo_u32 v10, v3, s18
	v_add_nc_u32_e32 v11, 1, v3
	v_sub_nc_u32_e32 v10, v6, v10
	v_subrev_nc_u32_e32 v12, s18, v10
	v_cmp_le_u32_e32 vcc_lo, s18, v10
	v_cndmask_b32_e32 v10, v10, v12, vcc_lo
	v_cndmask_b32_e32 v3, v3, v11, vcc_lo
	v_cmp_le_u32_e32 vcc_lo, s18, v10
	v_add_nc_u32_e32 v11, 1, v3
	v_cndmask_b32_e32 v10, v3, v11, vcc_lo
	v_mov_b32_e32 v11, v2
.LBB4_12:                               ;   in Loop: Header=BB4_4 Depth=1
	s_or_b32 exec_lo, exec_lo, s0
	v_or_b32_e32 v3, s17, v11
                                        ; implicit-def: $vgpr12_vgpr13
	s_mov_b32 s0, exec_lo
	v_cmpx_ne_u64_e32 0, v[2:3]
	s_xor_b32 s1, exec_lo, s0
	s_cbranch_execz .LBB4_14
; %bb.13:                               ;   in Loop: Header=BB4_4 Depth=1
	s_ashr_i32 s2, s17, 31
	v_ashrrev_i32_e32 v19, 31, v11
	s_add_u32 s54, s16, s2
	s_mov_b32 s3, s2
	s_addc_u32 s55, s17, s2
	s_xor_b64 s[2:3], s[54:55], s[2:3]
	v_add_co_u32 v13, vcc_lo, v10, v19
	v_cvt_f32_u32_e32 v3, s2
	v_cvt_f32_u32_e32 v12, s3
	s_sub_u32 s54, 0, s2
	s_subb_u32 s55, 0, s3
	v_add_co_ci_u32_e64 v14, null, v11, v19, vcc_lo
	v_fmac_f32_e32 v3, 0x4f800000, v12
	v_xor_b32_e32 v20, v14, v19
	v_rcp_f32_e32 v3, v3
	v_mul_f32_e32 v3, 0x5f7ffffc, v3
	v_mul_f32_e32 v12, 0x2f800000, v3
	v_trunc_f32_e32 v12, v12
	v_fmac_f32_e32 v3, 0xcf800000, v12
	v_cvt_u32_f32_e32 v12, v12
	v_cvt_u32_f32_e32 v3, v3
	v_readfirstlane_b32 s0, v12
	v_readfirstlane_b32 s53, v3
	s_mul_i32 s56, s54, s0
	v_xor_b32_e32 v3, v13, v19
	s_mul_hi_u32 s61, s54, s53
	s_mul_i32 s57, s55, s53
	s_add_i32 s56, s61, s56
	s_mul_i32 s62, s54, s53
	s_add_i32 s56, s56, s57
	s_mul_hi_u32 s61, s53, s62
	s_mul_i32 s64, s53, s56
	s_mul_hi_u32 s63, s0, s62
	s_mul_i32 s57, s0, s62
	s_mul_hi_u32 s62, s53, s56
	s_add_u32 s61, s61, s64
	s_addc_u32 s62, 0, s62
	s_mul_hi_u32 s65, s0, s56
	s_add_u32 s57, s61, s57
	s_mul_i32 s56, s0, s56
	s_addc_u32 s57, s62, s63
	s_addc_u32 s61, s65, 0
	s_add_u32 s56, s57, s56
	s_addc_u32 s57, 0, s61
	s_add_u32 s53, s53, s56
	s_cselect_b32 s56, -1, 0
	s_mul_hi_u32 s61, s54, s53
	s_cmp_lg_u32 s56, 0
	s_mul_i32 s56, s54, s53
	s_addc_u32 s0, s0, s57
	s_mul_i32 s55, s55, s53
	s_mul_i32 s54, s54, s0
	s_mul_hi_u32 s57, s53, s56
	s_add_i32 s54, s61, s54
	s_mul_hi_u32 s61, s0, s56
	s_add_i32 s54, s54, s55
	s_mul_i32 s55, s0, s56
	s_mul_i32 s63, s53, s54
	s_mul_hi_u32 s62, s53, s54
	s_add_u32 s57, s57, s63
	s_addc_u32 s62, 0, s62
	s_mul_hi_u32 s56, s0, s54
	s_add_u32 s55, s57, s55
	s_mul_i32 s54, s0, s54
	s_addc_u32 s55, s62, s61
	s_addc_u32 s56, s56, 0
	s_add_u32 s54, s55, s54
	s_addc_u32 s55, 0, s56
	s_add_u32 s53, s53, s54
	s_cselect_b32 s54, -1, 0
	v_mul_hi_u32 v21, v3, s53
	s_cmp_lg_u32 s54, 0
	v_mad_u64_u32 v[14:15], null, v20, s53, 0
	s_addc_u32 s0, s0, s55
	v_mad_u64_u32 v[12:13], null, v3, s0, 0
	v_mad_u64_u32 v[17:18], null, v20, s0, 0
	v_add_co_u32 v12, vcc_lo, v21, v12
	v_add_co_ci_u32_e64 v13, null, 0, v13, vcc_lo
	v_add_co_u32 v12, vcc_lo, v12, v14
	v_add_co_ci_u32_e32 v12, vcc_lo, v13, v15, vcc_lo
	v_add_co_ci_u32_e32 v13, vcc_lo, 0, v18, vcc_lo
	v_add_co_u32 v12, vcc_lo, v12, v17
	v_add_co_ci_u32_e64 v14, null, 0, v13, vcc_lo
	v_mul_lo_u32 v15, s3, v12
	v_mad_u64_u32 v[12:13], null, s2, v12, 0
	v_mul_lo_u32 v14, s2, v14
	v_sub_co_u32 v3, vcc_lo, v3, v12
	v_add3_u32 v13, v13, v14, v15
	v_cmp_le_u32_e64 s0, s2, v3
	v_sub_nc_u32_e32 v14, v20, v13
	v_sub_co_ci_u32_e64 v13, null, v20, v13, vcc_lo
	v_cndmask_b32_e64 v17, 0, -1, s0
	v_subrev_co_ci_u32_e64 v12, null, s3, v14, vcc_lo
	v_sub_co_u32 v14, vcc_lo, v3, s2
	v_subrev_co_ci_u32_e64 v15, null, 0, v12, vcc_lo
	v_cmp_le_u32_e64 s0, s2, v14
	v_subrev_co_ci_u32_e64 v12, null, s3, v12, vcc_lo
	v_cmp_le_u32_e32 vcc_lo, s3, v13
	v_cndmask_b32_e64 v18, 0, -1, s0
	v_cmp_le_u32_e64 s0, s3, v15
	v_cndmask_b32_e64 v21, 0, -1, vcc_lo
	v_cmp_eq_u32_e32 vcc_lo, s3, v15
	v_cndmask_b32_e64 v20, 0, -1, s0
	v_cmp_eq_u32_e64 s0, s3, v13
	v_cndmask_b32_e32 v18, v20, v18, vcc_lo
	v_sub_co_u32 v20, vcc_lo, v14, s2
	v_subrev_co_ci_u32_e64 v12, null, 0, v12, vcc_lo
	v_cmp_ne_u32_e32 vcc_lo, 0, v18
	v_cndmask_b32_e64 v17, v21, v17, s0
	v_cndmask_b32_e32 v12, v15, v12, vcc_lo
	v_cndmask_b32_e32 v14, v14, v20, vcc_lo
	v_cmp_ne_u32_e32 vcc_lo, 0, v17
	v_cndmask_b32_e32 v3, v3, v14, vcc_lo
	v_cndmask_b32_e32 v12, v13, v12, vcc_lo
	v_xor_b32_e32 v3, v3, v19
	v_xor_b32_e32 v13, v12, v19
	v_sub_co_u32 v12, vcc_lo, v3, v19
	v_sub_co_ci_u32_e64 v13, null, v13, v19, vcc_lo
.LBB4_14:                               ;   in Loop: Header=BB4_4 Depth=1
	s_andn2_saveexec_b32 s0, s1
	s_cbranch_execz .LBB4_16
; %bb.15:                               ;   in Loop: Header=BB4_4 Depth=1
	v_cvt_f32_u32_e32 v3, s16
	s_sub_i32 s1, 0, s16
	v_mov_b32_e32 v13, v2
	v_rcp_iflag_f32_e32 v3, v3
	v_mul_f32_e32 v3, 0x4f7ffffe, v3
	v_cvt_u32_f32_e32 v3, v3
	v_mul_lo_u32 v12, s1, v3
	v_mul_hi_u32 v12, v3, v12
	v_add_nc_u32_e32 v3, v3, v12
	v_mul_hi_u32 v3, v10, v3
	v_mul_lo_u32 v3, v3, s16
	v_sub_nc_u32_e32 v3, v10, v3
	v_subrev_nc_u32_e32 v12, s16, v3
	v_cmp_le_u32_e32 vcc_lo, s16, v3
	v_cndmask_b32_e32 v3, v3, v12, vcc_lo
	v_subrev_nc_u32_e32 v12, s16, v3
	v_cmp_le_u32_e32 vcc_lo, s16, v3
	v_cndmask_b32_e32 v12, v3, v12, vcc_lo
.LBB4_16:                               ;   in Loop: Header=BB4_4 Depth=1
	s_or_b32 exec_lo, exec_lo, s0
	v_or_b32_e32 v3, s59, v7
                                        ; implicit-def: $vgpr14_vgpr15
	s_mov_b32 s0, exec_lo
	v_cmpx_ne_u64_e32 0, v[2:3]
	s_xor_b32 s1, exec_lo, s0
	s_cbranch_execz .LBB4_18
; %bb.17:                               ;   in Loop: Header=BB4_4 Depth=1
	s_ashr_i32 s2, s59, 31
	v_add_co_u32 v15, vcc_lo, v6, v16
	s_add_u32 s54, s33, s2
	s_mov_b32 s3, s2
	s_addc_u32 s55, s59, s2
	v_add_co_ci_u32_e64 v17, null, v7, v16, vcc_lo
	s_xor_b64 s[54:55], s[54:55], s[2:3]
	v_cvt_f32_u32_e32 v3, s54
	v_cvt_f32_u32_e32 v14, s55
	s_sub_u32 s53, 0, s54
	s_subb_u32 s56, 0, s55
	v_xor_b32_e32 v21, v17, v16
	v_fmac_f32_e32 v3, 0x4f800000, v14
	v_rcp_f32_e32 v3, v3
	v_mul_f32_e32 v3, 0x5f7ffffc, v3
	v_mul_f32_e32 v14, 0x2f800000, v3
	v_trunc_f32_e32 v14, v14
	v_fmac_f32_e32 v3, 0xcf800000, v14
	v_cvt_u32_f32_e32 v14, v14
	v_cvt_u32_f32_e32 v3, v3
	v_readfirstlane_b32 s0, v14
	v_readfirstlane_b32 s3, v3
	s_mul_i32 s57, s53, s0
	v_xor_b32_e32 v3, v15, v16
	s_mul_hi_u32 s62, s53, s3
	s_mul_i32 s61, s56, s3
	s_add_i32 s57, s62, s57
	s_mul_i32 s63, s53, s3
	s_add_i32 s57, s57, s61
	s_mul_hi_u32 s62, s3, s63
	s_mul_i32 s65, s3, s57
	s_mul_hi_u32 s64, s0, s63
	s_mul_i32 s61, s0, s63
	s_mul_hi_u32 s63, s3, s57
	s_add_u32 s62, s62, s65
	s_addc_u32 s63, 0, s63
	s_mul_hi_u32 s66, s0, s57
	s_add_u32 s61, s62, s61
	s_mul_i32 s57, s0, s57
	s_addc_u32 s61, s63, s64
	s_addc_u32 s62, s66, 0
	s_add_u32 s57, s61, s57
	s_addc_u32 s61, 0, s62
	s_add_u32 s3, s3, s57
	s_cselect_b32 s57, -1, 0
	s_mul_hi_u32 s62, s53, s3
	s_cmp_lg_u32 s57, 0
	s_mul_i32 s57, s53, s3
	s_addc_u32 s0, s0, s61
	s_mul_i32 s56, s56, s3
	s_mul_i32 s53, s53, s0
	s_mul_hi_u32 s61, s3, s57
	s_add_i32 s53, s62, s53
	s_mul_hi_u32 s62, s0, s57
	s_add_i32 s53, s53, s56
	s_mul_i32 s56, s0, s57
	s_mul_i32 s64, s3, s53
	s_mul_hi_u32 s63, s3, s53
	s_add_u32 s61, s61, s64
	s_addc_u32 s63, 0, s63
	s_mul_hi_u32 s57, s0, s53
	s_add_u32 s56, s61, s56
	s_mul_i32 s53, s0, s53
	s_addc_u32 s56, s63, s62
	s_addc_u32 s57, s57, 0
	s_add_u32 s53, s56, s53
	s_addc_u32 s56, 0, s57
	s_add_u32 s3, s3, s53
	s_cselect_b32 s53, -1, 0
	v_mul_hi_u32 v22, v3, s3
	s_cmp_lg_u32 s53, 0
	v_mad_u64_u32 v[17:18], null, v21, s3, 0
	s_addc_u32 s0, s0, s56
	v_mad_u64_u32 v[14:15], null, v3, s0, 0
	v_mad_u64_u32 v[19:20], null, v21, s0, 0
	v_add_co_u32 v14, vcc_lo, v22, v14
	v_add_co_ci_u32_e64 v15, null, 0, v15, vcc_lo
	v_add_co_u32 v14, vcc_lo, v14, v17
	v_add_co_ci_u32_e32 v14, vcc_lo, v15, v18, vcc_lo
	v_add_co_ci_u32_e32 v15, vcc_lo, 0, v20, vcc_lo
	v_add_co_u32 v17, vcc_lo, v14, v19
	v_add_co_ci_u32_e64 v18, null, 0, v15, vcc_lo
	v_mul_lo_u32 v19, s55, v17
	v_mad_u64_u32 v[14:15], null, s54, v17, 0
	v_mul_lo_u32 v20, s54, v18
	v_sub_co_u32 v3, vcc_lo, v3, v14
	v_add3_u32 v15, v15, v20, v19
	v_sub_nc_u32_e32 v19, v21, v15
	v_sub_co_ci_u32_e64 v15, null, v21, v15, vcc_lo
	v_subrev_co_ci_u32_e64 v14, null, s55, v19, vcc_lo
	v_add_co_u32 v19, s0, v17, 2
	v_add_co_ci_u32_e64 v20, null, 0, v18, s0
	v_sub_co_u32 v22, s0, v3, s54
	v_subrev_co_ci_u32_e64 v14, null, 0, v14, s0
	v_cmp_le_u32_e32 vcc_lo, s54, v22
	v_cndmask_b32_e64 v21, 0, -1, vcc_lo
	v_cmp_le_u32_e32 vcc_lo, s55, v14
	v_cndmask_b32_e64 v22, 0, -1, vcc_lo
	;; [unrolled: 2-line block ×4, first 2 shown]
	v_cmp_eq_u32_e32 vcc_lo, s55, v14
	v_cndmask_b32_e32 v14, v22, v21, vcc_lo
	v_add_co_u32 v21, vcc_lo, v17, 1
	v_add_co_ci_u32_e64 v22, null, 0, v18, vcc_lo
	v_cmp_eq_u32_e32 vcc_lo, s55, v15
	v_xor_b32_e32 v15, s2, v16
	v_cndmask_b32_e32 v3, v23, v3, vcc_lo
	v_cmp_ne_u32_e32 vcc_lo, 0, v14
	v_cmp_ne_u32_e64 s0, 0, v3
	v_cndmask_b32_e32 v3, v21, v19, vcc_lo
	v_cndmask_b32_e32 v14, v22, v20, vcc_lo
	v_cndmask_b32_e64 v3, v17, v3, s0
	v_cndmask_b32_e64 v14, v18, v14, s0
	v_xor_b32_e32 v3, v3, v15
	v_xor_b32_e32 v16, v14, v15
	v_sub_co_u32 v14, vcc_lo, v3, v15
	v_sub_co_ci_u32_e64 v15, null, v16, v15, vcc_lo
.LBB4_18:                               ;   in Loop: Header=BB4_4 Depth=1
	s_andn2_saveexec_b32 s0, s1
	s_cbranch_execz .LBB4_20
; %bb.19:                               ;   in Loop: Header=BB4_4 Depth=1
	v_cvt_f32_u32_e32 v3, s33
	s_sub_i32 s1, 0, s33
	v_rcp_iflag_f32_e32 v3, v3
	v_mul_f32_e32 v3, 0x4f7ffffe, v3
	v_cvt_u32_f32_e32 v3, v3
	v_mul_lo_u32 v14, s1, v3
	v_mul_hi_u32 v14, v3, v14
	v_add_nc_u32_e32 v3, v3, v14
	v_mul_hi_u32 v3, v6, v3
	v_mul_lo_u32 v14, v3, s33
	v_add_nc_u32_e32 v15, 1, v3
	v_sub_nc_u32_e32 v14, v6, v14
	v_subrev_nc_u32_e32 v16, s33, v14
	v_cmp_le_u32_e32 vcc_lo, s33, v14
	v_cndmask_b32_e32 v14, v14, v16, vcc_lo
	v_cndmask_b32_e32 v3, v3, v15, vcc_lo
	v_cmp_le_u32_e32 vcc_lo, s33, v14
	v_add_nc_u32_e32 v15, 1, v3
	v_cndmask_b32_e32 v14, v3, v15, vcc_lo
	v_mov_b32_e32 v15, v2
.LBB4_20:                               ;   in Loop: Header=BB4_4 Depth=1
	s_or_b32 exec_lo, exec_lo, s0
	v_mul_lo_u32 v3, v11, s18
	v_mul_lo_u32 v11, v10, s19
	v_mad_u64_u32 v[16:17], null, v10, s18, 0
	s_mov_b32 s1, exec_lo
	v_add3_u32 v17, v17, v11, v3
	v_sub_co_u32 v3, vcc_lo, v6, v16
	v_sub_co_ci_u32_e64 v10, null, v7, v17, vcc_lo
	v_add_co_u32 v18, vcc_lo, v3, s38
	v_add_co_ci_u32_e64 v19, null, s39, v10, vcc_lo
	v_mov_b32_e32 v10, 0
	v_mov_b32_e32 v11, 0
	v_cmpx_lt_i64_e64 s[24:25], v[18:19]
	s_cbranch_execz .LBB4_26
; %bb.21:                               ;   in Loop: Header=BB4_4 Depth=1
	v_add_co_u32 v20, vcc_lo, v18, s26
	v_add_co_ci_u32_e64 v21, null, s27, v19, vcc_lo
                                        ; implicit-def: $vgpr10_vgpr11
	s_mov_b32 s0, exec_lo
	v_or_b32_e32 v3, s43, v21
	v_cmpx_ne_u64_e32 0, v[2:3]
	s_xor_b32 s53, exec_lo, s0
	s_cbranch_execz .LBB4_23
; %bb.22:                               ;   in Loop: Header=BB4_4 Depth=1
	s_ashr_i32 s2, s43, 31
	v_ashrrev_i32_e32 v24, 31, v21
	s_add_u32 s54, s42, s2
	s_mov_b32 s3, s2
	s_addc_u32 s55, s43, s2
	s_xor_b64 s[54:55], s[54:55], s[2:3]
	v_add_co_u32 v11, vcc_lo, v20, v24
	v_cvt_f32_u32_e32 v3, s54
	v_cvt_f32_u32_e32 v10, s55
	s_sub_u32 s56, 0, s54
	s_subb_u32 s57, 0, s55
	v_add_co_ci_u32_e64 v20, null, v21, v24, vcc_lo
	v_fmac_f32_e32 v3, 0x4f800000, v10
	v_xor_b32_e32 v25, v20, v24
	v_rcp_f32_e32 v3, v3
	v_mul_f32_e32 v3, 0x5f7ffffc, v3
	v_mul_f32_e32 v10, 0x2f800000, v3
	v_trunc_f32_e32 v10, v10
	v_fmac_f32_e32 v3, 0xcf800000, v10
	v_cvt_u32_f32_e32 v10, v10
	v_cvt_u32_f32_e32 v3, v3
	v_readfirstlane_b32 s0, v10
	v_readfirstlane_b32 s3, v3
	s_mul_i32 s61, s56, s0
	v_xor_b32_e32 v3, v11, v24
	s_mul_hi_u32 s63, s56, s3
	s_mul_i32 s62, s57, s3
	s_add_i32 s61, s63, s61
	s_mul_i32 s64, s56, s3
	s_add_i32 s61, s61, s62
	s_mul_hi_u32 s63, s3, s64
	s_mul_i32 s66, s3, s61
	s_mul_hi_u32 s65, s0, s64
	s_mul_i32 s62, s0, s64
	s_mul_hi_u32 s64, s3, s61
	s_add_u32 s63, s63, s66
	s_addc_u32 s64, 0, s64
	s_mul_hi_u32 s67, s0, s61
	s_add_u32 s62, s63, s62
	s_mul_i32 s61, s0, s61
	s_addc_u32 s62, s64, s65
	s_addc_u32 s63, s67, 0
	s_add_u32 s61, s62, s61
	s_addc_u32 s62, 0, s63
	s_add_u32 s3, s3, s61
	s_cselect_b32 s61, -1, 0
	s_mul_hi_u32 s63, s56, s3
	s_cmp_lg_u32 s61, 0
	s_mul_i32 s61, s56, s3
	s_addc_u32 s0, s0, s62
	s_mul_i32 s57, s57, s3
	s_mul_i32 s56, s56, s0
	s_mul_hi_u32 s62, s3, s61
	s_add_i32 s56, s63, s56
	s_mul_hi_u32 s63, s0, s61
	s_add_i32 s56, s56, s57
	s_mul_i32 s57, s0, s61
	s_mul_i32 s65, s3, s56
	s_mul_hi_u32 s64, s3, s56
	s_add_u32 s62, s62, s65
	s_addc_u32 s64, 0, s64
	s_mul_hi_u32 s61, s0, s56
	s_add_u32 s57, s62, s57
	s_mul_i32 s56, s0, s56
	s_addc_u32 s57, s64, s63
	s_addc_u32 s61, s61, 0
	s_add_u32 s56, s57, s56
	s_addc_u32 s57, 0, s61
	s_add_u32 s3, s3, s56
	s_cselect_b32 s56, -1, 0
	v_mul_hi_u32 v26, v3, s3
	s_cmp_lg_u32 s56, 0
	v_mad_u64_u32 v[20:21], null, v25, s3, 0
	s_addc_u32 s0, s0, s57
	v_mad_u64_u32 v[10:11], null, v3, s0, 0
	v_mad_u64_u32 v[22:23], null, v25, s0, 0
	v_add_co_u32 v10, vcc_lo, v26, v10
	v_add_co_ci_u32_e64 v11, null, 0, v11, vcc_lo
	v_add_co_u32 v10, vcc_lo, v10, v20
	v_add_co_ci_u32_e32 v10, vcc_lo, v11, v21, vcc_lo
	v_add_co_ci_u32_e32 v11, vcc_lo, 0, v23, vcc_lo
	v_add_co_u32 v20, vcc_lo, v10, v22
	v_add_co_ci_u32_e64 v21, null, 0, v11, vcc_lo
	v_mul_lo_u32 v22, s55, v20
	v_mad_u64_u32 v[10:11], null, s54, v20, 0
	v_mul_lo_u32 v23, s54, v21
	v_sub_co_u32 v3, vcc_lo, v3, v10
	v_add3_u32 v11, v11, v23, v22
	v_sub_nc_u32_e32 v22, v25, v11
	v_sub_co_ci_u32_e64 v11, null, v25, v11, vcc_lo
	v_subrev_co_ci_u32_e64 v10, null, s55, v22, vcc_lo
	v_add_co_u32 v22, s0, v20, 2
	v_add_co_ci_u32_e64 v23, null, 0, v21, s0
	v_sub_co_u32 v26, s0, v3, s54
	v_subrev_co_ci_u32_e64 v10, null, 0, v10, s0
	v_cmp_le_u32_e32 vcc_lo, s54, v26
	v_cndmask_b32_e64 v25, 0, -1, vcc_lo
	v_cmp_le_u32_e32 vcc_lo, s55, v10
	v_cndmask_b32_e64 v26, 0, -1, vcc_lo
	;; [unrolled: 2-line block ×4, first 2 shown]
	v_cmp_eq_u32_e32 vcc_lo, s55, v10
	v_cndmask_b32_e32 v10, v26, v25, vcc_lo
	v_add_co_u32 v25, vcc_lo, v20, 1
	v_add_co_ci_u32_e64 v26, null, 0, v21, vcc_lo
	v_cmp_eq_u32_e32 vcc_lo, s55, v11
	v_xor_b32_e32 v11, s2, v24
	v_cndmask_b32_e32 v3, v27, v3, vcc_lo
	v_cmp_ne_u32_e32 vcc_lo, 0, v10
	v_cmp_ne_u32_e64 s0, 0, v3
	v_cndmask_b32_e32 v3, v25, v22, vcc_lo
	v_cndmask_b32_e32 v10, v26, v23, vcc_lo
	v_cndmask_b32_e64 v3, v20, v3, s0
	v_cndmask_b32_e64 v10, v21, v10, s0
	v_xor_b32_e32 v3, v3, v11
	v_xor_b32_e32 v20, v10, v11
	v_sub_co_u32 v10, vcc_lo, v3, v11
	v_sub_co_ci_u32_e64 v11, null, v20, v11, vcc_lo
                                        ; implicit-def: $vgpr20
.LBB4_23:                               ;   in Loop: Header=BB4_4 Depth=1
	s_andn2_saveexec_b32 s0, s53
	s_cbranch_execz .LBB4_25
; %bb.24:                               ;   in Loop: Header=BB4_4 Depth=1
	v_cvt_f32_u32_e32 v3, s42
	s_sub_i32 s2, 0, s42
	v_rcp_iflag_f32_e32 v3, v3
	v_mul_f32_e32 v3, 0x4f7ffffe, v3
	v_cvt_u32_f32_e32 v3, v3
	v_mul_lo_u32 v10, s2, v3
	v_mul_hi_u32 v10, v3, v10
	v_add_nc_u32_e32 v3, v3, v10
	v_mul_hi_u32 v3, v20, v3
	v_mul_lo_u32 v10, v3, s42
	v_add_nc_u32_e32 v11, 1, v3
	v_sub_nc_u32_e32 v10, v20, v10
	v_subrev_nc_u32_e32 v20, s42, v10
	v_cmp_le_u32_e32 vcc_lo, s42, v10
	v_cndmask_b32_e32 v10, v10, v20, vcc_lo
	v_cndmask_b32_e32 v3, v3, v11, vcc_lo
	v_cmp_le_u32_e32 vcc_lo, s42, v10
	v_add_nc_u32_e32 v11, 1, v3
	v_cndmask_b32_e32 v10, v3, v11, vcc_lo
	v_mov_b32_e32 v11, v2
.LBB4_25:                               ;   in Loop: Header=BB4_4 Depth=1
	s_or_b32 exec_lo, exec_lo, s0
	v_add_co_u32 v10, vcc_lo, v10, 1
	v_add_co_ci_u32_e64 v11, null, 0, v11, vcc_lo
.LBB4_26:                               ;   in Loop: Header=BB4_4 Depth=1
	s_or_b32 exec_lo, exec_lo, s1
	v_or_b32_e32 v3, s43, v19
                                        ; implicit-def: $vgpr22_vgpr23
	s_mov_b32 s0, exec_lo
	v_cmpx_ne_u64_e32 0, v[2:3]
	s_xor_b32 s1, exec_lo, s0
	s_cbranch_execz .LBB4_28
; %bb.27:                               ;   in Loop: Header=BB4_4 Depth=1
	s_ashr_i32 s2, s43, 31
	v_ashrrev_i32_e32 v24, 31, v19
	s_add_u32 s54, s42, s2
	s_mov_b32 s3, s2
	s_addc_u32 s55, s43, s2
	s_xor_b64 s[54:55], s[54:55], s[2:3]
	v_add_co_u32 v18, vcc_lo, v18, v24
	v_cvt_f32_u32_e32 v3, s54
	v_cvt_f32_u32_e32 v20, s55
	s_sub_u32 s53, 0, s54
	s_subb_u32 s56, 0, s55
	v_add_co_ci_u32_e64 v19, null, v19, v24, vcc_lo
	v_fmac_f32_e32 v3, 0x4f800000, v20
	v_xor_b32_e32 v25, v19, v24
	v_rcp_f32_e32 v3, v3
	v_mul_f32_e32 v3, 0x5f7ffffc, v3
	v_mul_f32_e32 v20, 0x2f800000, v3
	v_trunc_f32_e32 v20, v20
	v_fmac_f32_e32 v3, 0xcf800000, v20
	v_cvt_u32_f32_e32 v20, v20
	v_cvt_u32_f32_e32 v3, v3
	v_readfirstlane_b32 s0, v20
	v_readfirstlane_b32 s3, v3
	s_mul_i32 s57, s53, s0
	v_xor_b32_e32 v3, v18, v24
	s_mul_hi_u32 s62, s53, s3
	s_mul_i32 s61, s56, s3
	s_add_i32 s57, s62, s57
	s_mul_i32 s63, s53, s3
	s_add_i32 s57, s57, s61
	s_mul_hi_u32 s62, s3, s63
	s_mul_i32 s65, s3, s57
	s_mul_hi_u32 s64, s0, s63
	s_mul_i32 s61, s0, s63
	s_mul_hi_u32 s63, s3, s57
	s_add_u32 s62, s62, s65
	s_addc_u32 s63, 0, s63
	s_mul_hi_u32 s66, s0, s57
	s_add_u32 s61, s62, s61
	s_mul_i32 s57, s0, s57
	s_addc_u32 s61, s63, s64
	s_addc_u32 s62, s66, 0
	s_add_u32 s57, s61, s57
	s_addc_u32 s61, 0, s62
	s_add_u32 s3, s3, s57
	s_cselect_b32 s57, -1, 0
	s_mul_hi_u32 s62, s53, s3
	s_cmp_lg_u32 s57, 0
	s_mul_i32 s57, s53, s3
	s_addc_u32 s0, s0, s61
	s_mul_i32 s56, s56, s3
	s_mul_i32 s53, s53, s0
	s_mul_hi_u32 s61, s3, s57
	s_add_i32 s53, s62, s53
	s_mul_hi_u32 s62, s0, s57
	s_add_i32 s53, s53, s56
	s_mul_i32 s56, s0, s57
	s_mul_i32 s64, s3, s53
	s_mul_hi_u32 s63, s3, s53
	s_add_u32 s61, s61, s64
	s_addc_u32 s63, 0, s63
	s_mul_hi_u32 s57, s0, s53
	s_add_u32 s56, s61, s56
	s_mul_i32 s53, s0, s53
	s_addc_u32 s56, s63, s62
	s_addc_u32 s57, s57, 0
	s_add_u32 s53, s56, s53
	s_addc_u32 s56, 0, s57
	s_add_u32 s3, s3, s53
	s_cselect_b32 s53, -1, 0
	v_mul_hi_u32 v26, v3, s3
	s_cmp_lg_u32 s53, 0
	v_mad_u64_u32 v[20:21], null, v25, s3, 0
	s_addc_u32 s0, s0, s56
	v_mad_u64_u32 v[18:19], null, v3, s0, 0
	v_mad_u64_u32 v[22:23], null, v25, s0, 0
	v_add_co_u32 v18, vcc_lo, v26, v18
	v_add_co_ci_u32_e64 v19, null, 0, v19, vcc_lo
	v_add_co_u32 v18, vcc_lo, v18, v20
	v_add_co_ci_u32_e32 v18, vcc_lo, v19, v21, vcc_lo
	v_add_co_ci_u32_e32 v19, vcc_lo, 0, v23, vcc_lo
	v_add_co_u32 v20, vcc_lo, v18, v22
	v_add_co_ci_u32_e64 v21, null, 0, v19, vcc_lo
	v_mul_lo_u32 v22, s55, v20
	v_mad_u64_u32 v[18:19], null, s54, v20, 0
	v_mul_lo_u32 v23, s54, v21
	v_sub_co_u32 v3, vcc_lo, v3, v18
	v_add3_u32 v19, v19, v23, v22
	v_sub_nc_u32_e32 v22, v25, v19
	v_sub_co_ci_u32_e64 v19, null, v25, v19, vcc_lo
	v_subrev_co_ci_u32_e64 v18, null, s55, v22, vcc_lo
	v_add_co_u32 v22, s0, v20, 2
	v_add_co_ci_u32_e64 v23, null, 0, v21, s0
	v_sub_co_u32 v26, s0, v3, s54
	v_subrev_co_ci_u32_e64 v18, null, 0, v18, s0
	v_cmp_le_u32_e32 vcc_lo, s54, v26
	v_cndmask_b32_e64 v25, 0, -1, vcc_lo
	v_cmp_le_u32_e32 vcc_lo, s55, v18
	v_cndmask_b32_e64 v26, 0, -1, vcc_lo
	v_cmp_le_u32_e32 vcc_lo, s54, v3
	v_cndmask_b32_e64 v3, 0, -1, vcc_lo
	v_cmp_le_u32_e32 vcc_lo, s55, v19
	v_cndmask_b32_e64 v27, 0, -1, vcc_lo
	v_cmp_eq_u32_e32 vcc_lo, s55, v18
	v_cndmask_b32_e32 v18, v26, v25, vcc_lo
	v_add_co_u32 v25, vcc_lo, v20, 1
	v_add_co_ci_u32_e64 v26, null, 0, v21, vcc_lo
	v_cmp_eq_u32_e32 vcc_lo, s55, v19
	v_xor_b32_e32 v19, s2, v24
	v_cndmask_b32_e32 v3, v27, v3, vcc_lo
	v_cmp_ne_u32_e32 vcc_lo, 0, v18
	v_cmp_ne_u32_e64 s0, 0, v3
	v_cndmask_b32_e32 v3, v25, v22, vcc_lo
	v_cndmask_b32_e32 v18, v26, v23, vcc_lo
	v_cndmask_b32_e64 v3, v20, v3, s0
	v_cndmask_b32_e64 v18, v21, v18, s0
	v_xor_b32_e32 v3, v3, v19
	v_xor_b32_e32 v18, v18, v19
	v_sub_co_u32 v22, vcc_lo, v3, v19
	v_sub_co_ci_u32_e64 v23, null, v18, v19, vcc_lo
                                        ; implicit-def: $vgpr18
.LBB4_28:                               ;   in Loop: Header=BB4_4 Depth=1
	s_andn2_saveexec_b32 s0, s1
	s_cbranch_execz .LBB4_30
; %bb.29:                               ;   in Loop: Header=BB4_4 Depth=1
	v_cvt_f32_u32_e32 v3, s42
	s_sub_i32 s1, 0, s42
	v_mov_b32_e32 v23, v2
	v_rcp_iflag_f32_e32 v3, v3
	v_mul_f32_e32 v3, 0x4f7ffffe, v3
	v_cvt_u32_f32_e32 v3, v3
	v_mul_lo_u32 v19, s1, v3
	v_mul_hi_u32 v19, v3, v19
	v_add_nc_u32_e32 v3, v3, v19
	v_mul_hi_u32 v3, v18, v3
	v_mul_lo_u32 v19, v3, s42
	v_sub_nc_u32_e32 v18, v18, v19
	v_add_nc_u32_e32 v19, 1, v3
	v_subrev_nc_u32_e32 v20, s42, v18
	v_cmp_le_u32_e32 vcc_lo, s42, v18
	v_cndmask_b32_e32 v18, v18, v20, vcc_lo
	v_cndmask_b32_e32 v3, v3, v19, vcc_lo
	v_cmp_le_u32_e32 vcc_lo, s42, v18
	v_add_nc_u32_e32 v19, 1, v3
	v_cndmask_b32_e32 v22, v3, v19, vcc_lo
.LBB4_30:                               ;   in Loop: Header=BB4_4 Depth=1
	s_or_b32 exec_lo, exec_lo, s0
	v_add_co_u32 v12, vcc_lo, v12, s36
	v_mov_b32_e32 v18, 0
	v_add_co_ci_u32_e64 v13, null, s37, v13, vcc_lo
	v_mov_b32_e32 v19, 0
	s_mov_b32 s1, exec_lo
	v_cmpx_lt_i64_e64 s[30:31], v[12:13]
	s_cbranch_execz .LBB4_36
; %bb.31:                               ;   in Loop: Header=BB4_4 Depth=1
	v_add_co_u32 v20, vcc_lo, v12, s34
	v_add_co_ci_u32_e64 v21, null, s35, v13, vcc_lo
                                        ; implicit-def: $vgpr18_vgpr19
	s_mov_b32 s0, exec_lo
	v_or_b32_e32 v3, s41, v21
	v_cmpx_ne_u64_e32 0, v[2:3]
	s_xor_b32 s53, exec_lo, s0
	s_cbranch_execz .LBB4_33
; %bb.32:                               ;   in Loop: Header=BB4_4 Depth=1
	s_ashr_i32 s2, s41, 31
	v_ashrrev_i32_e32 v26, 31, v21
	s_add_u32 s54, s40, s2
	s_mov_b32 s3, s2
	s_addc_u32 s55, s41, s2
	s_xor_b64 s[54:55], s[54:55], s[2:3]
	v_add_co_u32 v19, vcc_lo, v20, v26
	v_cvt_f32_u32_e32 v3, s54
	v_cvt_f32_u32_e32 v18, s55
	s_sub_u32 s56, 0, s54
	s_subb_u32 s57, 0, s55
	v_add_co_ci_u32_e64 v20, null, v21, v26, vcc_lo
	v_fmac_f32_e32 v3, 0x4f800000, v18
	v_xor_b32_e32 v27, v20, v26
	v_rcp_f32_e32 v3, v3
	v_mul_f32_e32 v3, 0x5f7ffffc, v3
	v_mul_f32_e32 v18, 0x2f800000, v3
	v_trunc_f32_e32 v18, v18
	v_fmac_f32_e32 v3, 0xcf800000, v18
	v_cvt_u32_f32_e32 v18, v18
	v_cvt_u32_f32_e32 v3, v3
	v_readfirstlane_b32 s0, v18
	v_readfirstlane_b32 s3, v3
	s_mul_i32 s61, s56, s0
	v_xor_b32_e32 v3, v19, v26
	s_mul_hi_u32 s63, s56, s3
	s_mul_i32 s62, s57, s3
	s_add_i32 s61, s63, s61
	s_mul_i32 s64, s56, s3
	s_add_i32 s61, s61, s62
	s_mul_hi_u32 s63, s3, s64
	s_mul_i32 s66, s3, s61
	s_mul_hi_u32 s65, s0, s64
	s_mul_i32 s62, s0, s64
	s_mul_hi_u32 s64, s3, s61
	s_add_u32 s63, s63, s66
	s_addc_u32 s64, 0, s64
	s_mul_hi_u32 s67, s0, s61
	s_add_u32 s62, s63, s62
	s_mul_i32 s61, s0, s61
	s_addc_u32 s62, s64, s65
	s_addc_u32 s63, s67, 0
	s_add_u32 s61, s62, s61
	s_addc_u32 s62, 0, s63
	s_add_u32 s3, s3, s61
	s_cselect_b32 s61, -1, 0
	s_mul_hi_u32 s63, s56, s3
	s_cmp_lg_u32 s61, 0
	s_mul_i32 s61, s56, s3
	s_addc_u32 s0, s0, s62
	s_mul_i32 s57, s57, s3
	s_mul_i32 s56, s56, s0
	s_mul_hi_u32 s62, s3, s61
	s_add_i32 s56, s63, s56
	s_mul_hi_u32 s63, s0, s61
	s_add_i32 s56, s56, s57
	s_mul_i32 s57, s0, s61
	s_mul_i32 s65, s3, s56
	s_mul_hi_u32 s64, s3, s56
	s_add_u32 s62, s62, s65
	s_addc_u32 s64, 0, s64
	s_mul_hi_u32 s61, s0, s56
	s_add_u32 s57, s62, s57
	s_mul_i32 s56, s0, s56
	s_addc_u32 s57, s64, s63
	s_addc_u32 s61, s61, 0
	s_add_u32 s56, s57, s56
	s_addc_u32 s57, 0, s61
	s_add_u32 s3, s3, s56
	s_cselect_b32 s56, -1, 0
	v_mul_hi_u32 v28, v3, s3
	s_cmp_lg_u32 s56, 0
	v_mad_u64_u32 v[20:21], null, v27, s3, 0
	s_addc_u32 s0, s0, s57
	v_mad_u64_u32 v[18:19], null, v3, s0, 0
	v_mad_u64_u32 v[24:25], null, v27, s0, 0
	v_add_co_u32 v18, vcc_lo, v28, v18
	v_add_co_ci_u32_e64 v19, null, 0, v19, vcc_lo
	v_add_co_u32 v18, vcc_lo, v18, v20
	v_add_co_ci_u32_e32 v18, vcc_lo, v19, v21, vcc_lo
	v_add_co_ci_u32_e32 v19, vcc_lo, 0, v25, vcc_lo
	v_add_co_u32 v20, vcc_lo, v18, v24
	v_add_co_ci_u32_e64 v21, null, 0, v19, vcc_lo
	v_mul_lo_u32 v24, s55, v20
	v_mad_u64_u32 v[18:19], null, s54, v20, 0
	v_mul_lo_u32 v25, s54, v21
	v_sub_co_u32 v3, vcc_lo, v3, v18
	v_add3_u32 v19, v19, v25, v24
	v_sub_nc_u32_e32 v24, v27, v19
	v_sub_co_ci_u32_e64 v19, null, v27, v19, vcc_lo
	v_subrev_co_ci_u32_e64 v18, null, s55, v24, vcc_lo
	v_add_co_u32 v24, s0, v20, 2
	v_add_co_ci_u32_e64 v25, null, 0, v21, s0
	v_sub_co_u32 v28, s0, v3, s54
	v_subrev_co_ci_u32_e64 v18, null, 0, v18, s0
	v_cmp_le_u32_e32 vcc_lo, s54, v28
	v_cndmask_b32_e64 v27, 0, -1, vcc_lo
	v_cmp_le_u32_e32 vcc_lo, s55, v18
	v_cndmask_b32_e64 v28, 0, -1, vcc_lo
	;; [unrolled: 2-line block ×4, first 2 shown]
	v_cmp_eq_u32_e32 vcc_lo, s55, v18
	v_cndmask_b32_e32 v18, v28, v27, vcc_lo
	v_add_co_u32 v27, vcc_lo, v20, 1
	v_add_co_ci_u32_e64 v28, null, 0, v21, vcc_lo
	v_cmp_eq_u32_e32 vcc_lo, s55, v19
	v_xor_b32_e32 v19, s2, v26
	v_cndmask_b32_e32 v3, v29, v3, vcc_lo
	v_cmp_ne_u32_e32 vcc_lo, 0, v18
	v_cmp_ne_u32_e64 s0, 0, v3
	v_cndmask_b32_e32 v3, v27, v24, vcc_lo
	v_cndmask_b32_e32 v18, v28, v25, vcc_lo
	v_cndmask_b32_e64 v3, v20, v3, s0
	v_cndmask_b32_e64 v18, v21, v18, s0
	v_xor_b32_e32 v3, v3, v19
	v_xor_b32_e32 v20, v18, v19
	v_sub_co_u32 v18, vcc_lo, v3, v19
	v_sub_co_ci_u32_e64 v19, null, v20, v19, vcc_lo
                                        ; implicit-def: $vgpr20
.LBB4_33:                               ;   in Loop: Header=BB4_4 Depth=1
	s_andn2_saveexec_b32 s0, s53
	s_cbranch_execz .LBB4_35
; %bb.34:                               ;   in Loop: Header=BB4_4 Depth=1
	v_cvt_f32_u32_e32 v3, s40
	s_sub_i32 s2, 0, s40
	v_rcp_iflag_f32_e32 v3, v3
	v_mul_f32_e32 v3, 0x4f7ffffe, v3
	v_cvt_u32_f32_e32 v3, v3
	v_mul_lo_u32 v18, s2, v3
	v_mul_hi_u32 v18, v3, v18
	v_add_nc_u32_e32 v3, v3, v18
	v_mul_hi_u32 v3, v20, v3
	v_mul_lo_u32 v18, v3, s40
	v_add_nc_u32_e32 v19, 1, v3
	v_sub_nc_u32_e32 v18, v20, v18
	v_subrev_nc_u32_e32 v20, s40, v18
	v_cmp_le_u32_e32 vcc_lo, s40, v18
	v_cndmask_b32_e32 v18, v18, v20, vcc_lo
	v_cndmask_b32_e32 v3, v3, v19, vcc_lo
	v_cmp_le_u32_e32 vcc_lo, s40, v18
	v_add_nc_u32_e32 v19, 1, v3
	v_cndmask_b32_e32 v18, v3, v19, vcc_lo
	v_mov_b32_e32 v19, v2
.LBB4_35:                               ;   in Loop: Header=BB4_4 Depth=1
	s_or_b32 exec_lo, exec_lo, s0
	v_add_co_u32 v18, vcc_lo, v18, 1
	v_add_co_ci_u32_e64 v19, null, 0, v19, vcc_lo
.LBB4_36:                               ;   in Loop: Header=BB4_4 Depth=1
	s_or_b32 exec_lo, exec_lo, s1
	v_or_b32_e32 v3, s41, v13
                                        ; implicit-def: $vgpr20_vgpr21
	s_mov_b32 s0, exec_lo
	v_cmpx_ne_u64_e32 0, v[2:3]
	s_xor_b32 s1, exec_lo, s0
	s_cbranch_execz .LBB4_38
; %bb.37:                               ;   in Loop: Header=BB4_4 Depth=1
	s_ashr_i32 s2, s41, 31
	v_ashrrev_i32_e32 v28, 31, v13
	s_add_u32 s54, s40, s2
	s_mov_b32 s3, s2
	s_addc_u32 s55, s41, s2
	s_xor_b64 s[54:55], s[54:55], s[2:3]
	v_add_co_u32 v21, vcc_lo, v12, v28
	v_cvt_f32_u32_e32 v3, s54
	v_cvt_f32_u32_e32 v20, s55
	s_sub_u32 s53, 0, s54
	s_subb_u32 s56, 0, s55
	v_add_co_ci_u32_e64 v24, null, v13, v28, vcc_lo
	v_fmac_f32_e32 v3, 0x4f800000, v20
	v_xor_b32_e32 v29, v24, v28
	v_rcp_f32_e32 v3, v3
	v_mul_f32_e32 v3, 0x5f7ffffc, v3
	v_mul_f32_e32 v20, 0x2f800000, v3
	v_trunc_f32_e32 v20, v20
	v_fmac_f32_e32 v3, 0xcf800000, v20
	v_cvt_u32_f32_e32 v20, v20
	v_cvt_u32_f32_e32 v3, v3
	v_readfirstlane_b32 s0, v20
	v_readfirstlane_b32 s3, v3
	s_mul_i32 s57, s53, s0
	v_xor_b32_e32 v3, v21, v28
	s_mul_hi_u32 s62, s53, s3
	s_mul_i32 s61, s56, s3
	s_add_i32 s57, s62, s57
	s_mul_i32 s63, s53, s3
	s_add_i32 s57, s57, s61
	s_mul_hi_u32 s62, s3, s63
	s_mul_i32 s65, s3, s57
	s_mul_hi_u32 s64, s0, s63
	s_mul_i32 s61, s0, s63
	s_mul_hi_u32 s63, s3, s57
	s_add_u32 s62, s62, s65
	s_addc_u32 s63, 0, s63
	s_mul_hi_u32 s66, s0, s57
	s_add_u32 s61, s62, s61
	s_mul_i32 s57, s0, s57
	s_addc_u32 s61, s63, s64
	s_addc_u32 s62, s66, 0
	s_add_u32 s57, s61, s57
	s_addc_u32 s61, 0, s62
	s_add_u32 s3, s3, s57
	s_cselect_b32 s57, -1, 0
	s_mul_hi_u32 s62, s53, s3
	s_cmp_lg_u32 s57, 0
	s_mul_i32 s57, s53, s3
	s_addc_u32 s0, s0, s61
	s_mul_i32 s56, s56, s3
	s_mul_i32 s53, s53, s0
	s_mul_hi_u32 s61, s3, s57
	s_add_i32 s53, s62, s53
	s_mul_hi_u32 s62, s0, s57
	s_add_i32 s53, s53, s56
	s_mul_i32 s56, s0, s57
	s_mul_i32 s64, s3, s53
	s_mul_hi_u32 s63, s3, s53
	s_add_u32 s61, s61, s64
	s_addc_u32 s63, 0, s63
	s_mul_hi_u32 s57, s0, s53
	s_add_u32 s56, s61, s56
	s_mul_i32 s53, s0, s53
	s_addc_u32 s56, s63, s62
	s_addc_u32 s57, s57, 0
	s_add_u32 s53, s56, s53
	s_addc_u32 s56, 0, s57
	s_add_u32 s3, s3, s53
	s_cselect_b32 s53, -1, 0
	v_mul_hi_u32 v30, v3, s3
	s_cmp_lg_u32 s53, 0
	v_mad_u64_u32 v[24:25], null, v29, s3, 0
	s_addc_u32 s0, s0, s56
	v_mad_u64_u32 v[20:21], null, v3, s0, 0
	v_mad_u64_u32 v[26:27], null, v29, s0, 0
	v_add_co_u32 v20, vcc_lo, v30, v20
	v_add_co_ci_u32_e64 v21, null, 0, v21, vcc_lo
	v_add_co_u32 v20, vcc_lo, v20, v24
	v_add_co_ci_u32_e32 v20, vcc_lo, v21, v25, vcc_lo
	v_add_co_ci_u32_e32 v21, vcc_lo, 0, v27, vcc_lo
	v_add_co_u32 v24, vcc_lo, v20, v26
	v_add_co_ci_u32_e64 v25, null, 0, v21, vcc_lo
	v_mul_lo_u32 v26, s55, v24
	v_mad_u64_u32 v[20:21], null, s54, v24, 0
	v_mul_lo_u32 v27, s54, v25
	v_sub_co_u32 v3, vcc_lo, v3, v20
	v_add3_u32 v21, v21, v27, v26
	v_sub_nc_u32_e32 v26, v29, v21
	v_sub_co_ci_u32_e64 v21, null, v29, v21, vcc_lo
	v_subrev_co_ci_u32_e64 v20, null, s55, v26, vcc_lo
	v_add_co_u32 v26, s0, v24, 2
	v_add_co_ci_u32_e64 v27, null, 0, v25, s0
	v_sub_co_u32 v30, s0, v3, s54
	v_subrev_co_ci_u32_e64 v20, null, 0, v20, s0
	v_cmp_le_u32_e32 vcc_lo, s54, v30
	v_cndmask_b32_e64 v29, 0, -1, vcc_lo
	v_cmp_le_u32_e32 vcc_lo, s55, v20
	v_cndmask_b32_e64 v30, 0, -1, vcc_lo
	;; [unrolled: 2-line block ×4, first 2 shown]
	v_cmp_eq_u32_e32 vcc_lo, s55, v20
	v_cndmask_b32_e32 v20, v30, v29, vcc_lo
	v_add_co_u32 v29, vcc_lo, v24, 1
	v_add_co_ci_u32_e64 v30, null, 0, v25, vcc_lo
	v_cmp_eq_u32_e32 vcc_lo, s55, v21
	v_xor_b32_e32 v21, s2, v28
	v_cndmask_b32_e32 v3, v31, v3, vcc_lo
	v_cmp_ne_u32_e32 vcc_lo, 0, v20
	v_cmp_ne_u32_e64 s0, 0, v3
	v_cndmask_b32_e32 v3, v29, v26, vcc_lo
	v_cndmask_b32_e32 v20, v30, v27, vcc_lo
	v_cndmask_b32_e64 v3, v24, v3, s0
	v_cndmask_b32_e64 v20, v25, v20, s0
	v_xor_b32_e32 v3, v3, v21
	v_xor_b32_e32 v24, v20, v21
	v_sub_co_u32 v20, vcc_lo, v3, v21
	v_sub_co_ci_u32_e64 v21, null, v24, v21, vcc_lo
.LBB4_38:                               ;   in Loop: Header=BB4_4 Depth=1
	s_andn2_saveexec_b32 s0, s1
	s_cbranch_execz .LBB4_40
; %bb.39:                               ;   in Loop: Header=BB4_4 Depth=1
	v_cvt_f32_u32_e32 v3, s40
	s_sub_i32 s1, 0, s40
	v_rcp_iflag_f32_e32 v3, v3
	v_mul_f32_e32 v3, 0x4f7ffffe, v3
	v_cvt_u32_f32_e32 v3, v3
	v_mul_lo_u32 v20, s1, v3
	v_mul_hi_u32 v20, v3, v20
	v_add_nc_u32_e32 v3, v3, v20
	v_mul_hi_u32 v3, v12, v3
	v_mul_lo_u32 v20, v3, s40
	v_add_nc_u32_e32 v21, 1, v3
	v_sub_nc_u32_e32 v20, v12, v20
	v_subrev_nc_u32_e32 v24, s40, v20
	v_cmp_le_u32_e32 vcc_lo, s40, v20
	v_cndmask_b32_e32 v20, v20, v24, vcc_lo
	v_cndmask_b32_e32 v3, v3, v21, vcc_lo
	v_cmp_le_u32_e32 vcc_lo, s40, v20
	v_add_nc_u32_e32 v21, 1, v3
	v_cndmask_b32_e32 v20, v3, v21, vcc_lo
	v_mov_b32_e32 v21, v2
.LBB4_40:                               ;   in Loop: Header=BB4_4 Depth=1
	s_or_b32 exec_lo, exec_lo, s0
	v_add_co_u32 v20, vcc_lo, v20, 1
	v_add_co_ci_u32_e64 v21, null, 0, v21, vcc_lo
	v_mov_b32_e32 v3, 0
	s_mov_b32 s53, exec_lo
	v_cmp_gt_i64_e32 vcc_lo, s[48:49], v[20:21]
	v_cndmask_b32_e32 v21, s49, v21, vcc_lo
	v_cndmask_b32_e32 v20, s48, v20, vcc_lo
	v_cmpx_lt_i64_e64 v[18:19], v[20:21]
	s_cbranch_execz .LBB4_3
; %bb.41:                               ;   in Loop: Header=BB4_4 Depth=1
	v_add_co_u32 v22, vcc_lo, v22, 1
	v_add_co_ci_u32_e64 v23, null, 0, v23, vcc_lo
	v_mul_lo_u32 v30, s43, v10
	v_mul_lo_u32 v31, s42, v11
	v_mad_u64_u32 v[26:27], null, s42, v10, 0
	v_cmp_gt_i64_e32 vcc_lo, s[50:51], v[22:23]
	v_lshlrev_b64 v[24:25], 1, v[10:11]
	v_mul_lo_u32 v3, v15, s20
	v_mul_lo_u32 v28, v14, s21
	v_mad_u64_u32 v[14:15], null, v14, s20, 0
	v_cndmask_b32_e32 v23, s51, v23, vcc_lo
	v_cndmask_b32_e32 v22, s50, v22, vcc_lo
	v_add_co_u32 v33, vcc_lo, s38, v0
	v_mul_lo_u32 v29, s12, v5
	v_mul_lo_u32 v32, s13, v4
	v_mad_u64_u32 v[24:25], null, s12, v4, v[24:25]
	v_add_co_ci_u32_e64 v35, null, s39, v1, vcc_lo
	v_add3_u32 v27, v27, v31, v30
	v_add3_u32 v15, v15, v28, v3
	v_sub_co_u32 v3, vcc_lo, v33, v26
	v_add3_u32 v25, v32, v25, v29
	v_sub_co_ci_u32_e64 v26, null, v35, v27, vcc_lo
	v_sub_co_u32 v3, vcc_lo, v3, v16
	v_cmp_lt_i64_e64 s0, v[10:11], v[22:23]
	v_sub_co_ci_u32_e64 v26, null, v26, v17, vcc_lo
	v_add_co_u32 v16, vcc_lo, s10, v24
	v_add_co_ci_u32_e64 v17, null, s11, v25, vcc_lo
	v_sub_co_u32 v8, vcc_lo, v3, v8
	v_sub_co_ci_u32_e64 v9, null, v26, v9, vcc_lo
	v_mov_b32_e32 v35, 0
	s_mov_b32 s61, 0
	s_branch .LBB4_44
.LBB4_42:                               ;   in Loop: Header=BB4_44 Depth=2
	s_or_b32 exec_lo, exec_lo, s3
.LBB4_43:                               ;   in Loop: Header=BB4_44 Depth=2
	s_or_b32 exec_lo, exec_lo, s62
	v_add_co_u32 v18, vcc_lo, v18, 1
	v_add_co_ci_u32_e64 v19, null, 0, v19, vcc_lo
	v_cmp_ge_i64_e32 vcc_lo, v[18:19], v[20:21]
	s_or_b32 s61, vcc_lo, s61
	s_andn2_b32 exec_lo, exec_lo, s61
	s_cbranch_execz .LBB4_2
.LBB4_44:                               ;   Parent Loop BB4_4 Depth=1
                                        ; =>  This Loop Header: Depth=2
                                        ;       Child Loop BB4_52 Depth 3
	s_and_saveexec_b32 s62, s0
	s_cbranch_execz .LBB4_43
; %bb.45:                               ;   in Loop: Header=BB4_44 Depth=2
	v_mul_lo_u32 v3, v19, s40
	v_mul_lo_u32 v26, v18, s41
	v_mad_u64_u32 v[24:25], null, v18, s40, 0
	s_mov_b32 s1, exec_lo
	v_add3_u32 v3, v25, v26, v3
	v_sub_co_u32 v26, vcc_lo, v12, v24
                                        ; implicit-def: $vgpr24_vgpr25
	v_sub_co_ci_u32_e64 v27, null, v13, v3, vcc_lo
	v_or_b32_e32 v3, s45, v27
	v_cmpx_ne_u64_e32 0, v[2:3]
	s_xor_b32 s56, exec_lo, s1
	s_cbranch_execz .LBB4_47
; %bb.46:                               ;   in Loop: Header=BB4_44 Depth=2
	s_ashr_i32 s2, s45, 31
	v_ashrrev_i32_e32 v32, 31, v27
	s_add_u32 s54, s44, s2
	s_mov_b32 s3, s2
	s_addc_u32 s55, s45, s2
	s_xor_b64 s[54:55], s[54:55], s[2:3]
	v_add_co_u32 v25, vcc_lo, v26, v32
	v_cvt_f32_u32_e32 v3, s54
	v_cvt_f32_u32_e32 v24, s55
	s_sub_u32 s57, 0, s54
	s_subb_u32 s63, 0, s55
	v_add_co_ci_u32_e64 v28, null, v27, v32, vcc_lo
	v_fmac_f32_e32 v3, 0x4f800000, v24
	v_xor_b32_e32 v33, v28, v32
	v_rcp_f32_e32 v3, v3
	v_mul_f32_e32 v3, 0x5f7ffffc, v3
	v_mul_f32_e32 v24, 0x2f800000, v3
	v_trunc_f32_e32 v24, v24
	v_fmac_f32_e32 v3, 0xcf800000, v24
	v_cvt_u32_f32_e32 v24, v24
	v_cvt_u32_f32_e32 v3, v3
	v_readfirstlane_b32 s1, v24
	v_readfirstlane_b32 s3, v3
	s_mul_i32 s64, s57, s1
	v_xor_b32_e32 v3, v25, v32
	s_mul_hi_u32 s66, s57, s3
	s_mul_i32 s65, s63, s3
	s_add_i32 s64, s66, s64
	s_mul_i32 s67, s57, s3
	s_add_i32 s64, s64, s65
	s_mul_hi_u32 s66, s3, s67
	s_mul_i32 s69, s3, s64
	s_mul_hi_u32 s68, s1, s67
	s_mul_i32 s65, s1, s67
	s_mul_hi_u32 s67, s3, s64
	s_add_u32 s66, s66, s69
	s_addc_u32 s67, 0, s67
	s_mul_hi_u32 s70, s1, s64
	s_add_u32 s65, s66, s65
	s_mul_i32 s64, s1, s64
	s_addc_u32 s65, s67, s68
	s_addc_u32 s66, s70, 0
	s_add_u32 s64, s65, s64
	s_addc_u32 s65, 0, s66
	s_add_u32 s3, s3, s64
	s_cselect_b32 s64, -1, 0
	s_mul_hi_u32 s66, s57, s3
	s_cmp_lg_u32 s64, 0
	s_mul_i32 s64, s57, s3
	s_addc_u32 s1, s1, s65
	s_mul_i32 s63, s63, s3
	s_mul_i32 s57, s57, s1
	s_mul_hi_u32 s65, s3, s64
	s_add_i32 s57, s66, s57
	s_mul_hi_u32 s66, s1, s64
	s_add_i32 s57, s57, s63
	s_mul_i32 s63, s1, s64
	s_mul_i32 s68, s3, s57
	s_mul_hi_u32 s67, s3, s57
	s_add_u32 s65, s65, s68
	s_addc_u32 s67, 0, s67
	s_mul_hi_u32 s64, s1, s57
	s_add_u32 s63, s65, s63
	s_mul_i32 s57, s1, s57
	s_addc_u32 s63, s67, s66
	s_addc_u32 s64, s64, 0
	s_add_u32 s57, s63, s57
	s_addc_u32 s63, 0, s64
	s_add_u32 s3, s3, s57
	s_cselect_b32 s57, -1, 0
	v_mul_hi_u32 v36, v3, s3
	s_cmp_lg_u32 s57, 0
	v_mad_u64_u32 v[28:29], null, v33, s3, 0
	s_addc_u32 s1, s1, s63
	v_mad_u64_u32 v[24:25], null, v3, s1, 0
	v_mad_u64_u32 v[30:31], null, v33, s1, 0
	v_add_co_u32 v24, vcc_lo, v36, v24
	v_add_co_ci_u32_e64 v25, null, 0, v25, vcc_lo
	v_add_co_u32 v24, vcc_lo, v24, v28
	v_add_co_ci_u32_e32 v24, vcc_lo, v25, v29, vcc_lo
	v_add_co_ci_u32_e32 v25, vcc_lo, 0, v31, vcc_lo
	v_add_co_u32 v28, vcc_lo, v24, v30
	v_add_co_ci_u32_e64 v29, null, 0, v25, vcc_lo
	v_mul_lo_u32 v30, s55, v28
	v_mad_u64_u32 v[24:25], null, s54, v28, 0
	v_mul_lo_u32 v31, s54, v29
	v_sub_co_u32 v3, vcc_lo, v3, v24
	v_add3_u32 v25, v25, v31, v30
	v_sub_nc_u32_e32 v30, v33, v25
	v_sub_co_ci_u32_e64 v25, null, v33, v25, vcc_lo
	v_subrev_co_ci_u32_e64 v24, null, s55, v30, vcc_lo
	v_add_co_u32 v30, s1, v28, 2
	v_add_co_ci_u32_e64 v31, null, 0, v29, s1
	v_sub_co_u32 v36, s1, v3, s54
	v_subrev_co_ci_u32_e64 v24, null, 0, v24, s1
	v_cmp_le_u32_e32 vcc_lo, s54, v36
	v_cndmask_b32_e64 v33, 0, -1, vcc_lo
	v_cmp_le_u32_e32 vcc_lo, s55, v24
	v_cndmask_b32_e64 v36, 0, -1, vcc_lo
	;; [unrolled: 2-line block ×4, first 2 shown]
	v_cmp_eq_u32_e32 vcc_lo, s55, v24
	v_cndmask_b32_e32 v24, v36, v33, vcc_lo
	v_add_co_u32 v33, vcc_lo, v28, 1
	v_add_co_ci_u32_e64 v36, null, 0, v29, vcc_lo
	v_cmp_eq_u32_e32 vcc_lo, s55, v25
	v_xor_b32_e32 v25, s2, v32
	v_cndmask_b32_e32 v3, v37, v3, vcc_lo
	v_cmp_ne_u32_e32 vcc_lo, 0, v24
	v_cmp_ne_u32_e64 s1, 0, v3
	v_cndmask_b32_e32 v3, v33, v30, vcc_lo
	v_cndmask_b32_e32 v24, v36, v31, vcc_lo
	v_cndmask_b32_e64 v3, v28, v3, s1
	v_cndmask_b32_e64 v24, v29, v24, s1
	v_xor_b32_e32 v3, v3, v25
	v_xor_b32_e32 v28, v24, v25
	v_sub_co_u32 v24, vcc_lo, v3, v25
	v_sub_co_ci_u32_e64 v25, null, v28, v25, vcc_lo
.LBB4_47:                               ;   in Loop: Header=BB4_44 Depth=2
	s_andn2_saveexec_b32 s1, s56
	s_cbranch_execz .LBB4_49
; %bb.48:                               ;   in Loop: Header=BB4_44 Depth=2
	v_cvt_f32_u32_e32 v3, s44
	s_sub_i32 s2, 0, s44
	v_rcp_iflag_f32_e32 v3, v3
	v_mul_f32_e32 v3, 0x4f7ffffe, v3
	v_cvt_u32_f32_e32 v3, v3
	v_mul_lo_u32 v24, s2, v3
	v_mul_hi_u32 v24, v3, v24
	v_add_nc_u32_e32 v3, v3, v24
	v_mul_hi_u32 v3, v26, v3
	v_mul_lo_u32 v24, v3, s44
	v_add_nc_u32_e32 v25, 1, v3
	v_sub_nc_u32_e32 v24, v26, v24
	v_subrev_nc_u32_e32 v28, s44, v24
	v_cmp_le_u32_e32 vcc_lo, s44, v24
	v_cndmask_b32_e32 v24, v24, v28, vcc_lo
	v_cndmask_b32_e32 v3, v3, v25, vcc_lo
	v_cmp_le_u32_e32 vcc_lo, s44, v24
	v_add_nc_u32_e32 v25, 1, v3
	v_cndmask_b32_e32 v24, v3, v25, vcc_lo
	v_mov_b32_e32 v25, v2
.LBB4_49:                               ;   in Loop: Header=BB4_44 Depth=2
	s_or_b32 exec_lo, exec_lo, s1
	v_mul_lo_u32 v3, v25, s44
	v_mul_lo_u32 v30, v24, s45
	v_mad_u64_u32 v[28:29], null, v24, s44, 0
	v_add_co_u32 v24, vcc_lo, v24, v14
	v_add_co_ci_u32_e64 v25, null, v25, v15, vcc_lo
	s_mov_b32 s3, 0
	v_add3_u32 v3, v29, v30, v3
	v_mul_lo_u32 v29, v25, s22
	v_mul_lo_u32 v30, v24, s23
	v_mad_u64_u32 v[24:25], null, v24, s22, 0
	v_sub_co_u32 v26, vcc_lo, v26, v28
	v_sub_co_ci_u32_e64 v27, null, v27, v3, vcc_lo
	v_add3_u32 v25, v25, v30, v29
	v_cmp_eq_u64_e64 s1, 0, v[26:27]
	v_mov_b32_e32 v27, v9
	v_mov_b32_e32 v29, v17
	;; [unrolled: 1-line block ×6, first 2 shown]
	s_branch .LBB4_52
.LBB4_50:                               ;   in Loop: Header=BB4_52 Depth=3
	s_or_b32 exec_lo, exec_lo, s2
.LBB4_51:                               ;   in Loop: Header=BB4_52 Depth=3
	s_or_b32 exec_lo, exec_lo, s63
	v_add_co_u32 v30, vcc_lo, v30, 1
	v_add_co_ci_u32_e64 v31, null, 0, v31, vcc_lo
	v_add_co_u32 v28, vcc_lo, v28, 2
	v_add_co_ci_u32_e64 v29, null, 0, v29, vcc_lo
	v_cmp_ge_i64_e32 vcc_lo, v[30:31], v[22:23]
	v_sub_co_u32 v26, s2, v26, s42
	v_subrev_co_ci_u32_e64 v27, null, s43, v27, s2
	s_or_b32 s3, vcc_lo, s3
	s_andn2_b32 exec_lo, exec_lo, s3
	s_cbranch_execz .LBB4_42
.LBB4_52:                               ;   Parent Loop BB4_4 Depth=1
                                        ;     Parent Loop BB4_44 Depth=2
                                        ; =>    This Inner Loop Header: Depth=3
	s_and_saveexec_b32 s63, s1
	s_cbranch_execz .LBB4_51
; %bb.53:                               ;   in Loop: Header=BB4_52 Depth=3
	v_or_b32_e32 v3, s47, v27
                                        ; implicit-def: $vgpr32_vgpr33
	s_mov_b32 s2, exec_lo
	v_cmpx_ne_u64_e32 0, v[2:3]
	s_xor_b32 s64, exec_lo, s2
	s_cbranch_execz .LBB4_55
; %bb.54:                               ;   in Loop: Header=BB4_52 Depth=3
	s_ashr_i32 s54, s47, 31
	v_ashrrev_i32_e32 v40, 31, v27
	s_add_u32 s56, s46, s54
	s_mov_b32 s55, s54
	s_addc_u32 s57, s47, s54
	s_xor_b64 s[56:57], s[56:57], s[54:55]
	v_add_co_u32 v33, vcc_lo, v26, v40
	v_cvt_f32_u32_e32 v3, s56
	v_cvt_f32_u32_e32 v32, s57
	s_sub_u32 s65, 0, s56
	s_subb_u32 s66, 0, s57
	v_add_co_ci_u32_e64 v36, null, v27, v40, vcc_lo
	v_fmac_f32_e32 v3, 0x4f800000, v32
	v_xor_b32_e32 v41, v36, v40
	v_rcp_f32_e32 v3, v3
	v_mul_f32_e32 v3, 0x5f7ffffc, v3
	v_mul_f32_e32 v32, 0x2f800000, v3
	v_trunc_f32_e32 v32, v32
	v_fmac_f32_e32 v3, 0xcf800000, v32
	v_cvt_u32_f32_e32 v32, v32
	v_cvt_u32_f32_e32 v3, v3
	v_readfirstlane_b32 s2, v32
	v_readfirstlane_b32 s55, v3
	s_mul_i32 s67, s65, s2
	v_xor_b32_e32 v3, v33, v40
	s_mul_hi_u32 s69, s65, s55
	s_mul_i32 s68, s66, s55
	s_add_i32 s67, s69, s67
	s_mul_i32 s70, s65, s55
	s_add_i32 s67, s67, s68
	s_mul_hi_u32 s69, s55, s70
	s_mul_i32 s72, s55, s67
	s_mul_hi_u32 s71, s2, s70
	s_mul_i32 s68, s2, s70
	s_mul_hi_u32 s70, s55, s67
	s_add_u32 s69, s69, s72
	s_addc_u32 s70, 0, s70
	s_mul_hi_u32 s73, s2, s67
	s_add_u32 s68, s69, s68
	s_mul_i32 s67, s2, s67
	s_addc_u32 s68, s70, s71
	s_addc_u32 s69, s73, 0
	s_add_u32 s67, s68, s67
	s_addc_u32 s68, 0, s69
	s_add_u32 s55, s55, s67
	s_cselect_b32 s67, -1, 0
	s_mul_hi_u32 s69, s65, s55
	s_cmp_lg_u32 s67, 0
	s_mul_i32 s67, s65, s55
	s_addc_u32 s2, s2, s68
	s_mul_i32 s66, s66, s55
	s_mul_i32 s65, s65, s2
	s_mul_hi_u32 s68, s55, s67
	s_add_i32 s65, s69, s65
	s_mul_hi_u32 s69, s2, s67
	s_add_i32 s65, s65, s66
	s_mul_i32 s66, s2, s67
	s_mul_i32 s71, s55, s65
	s_mul_hi_u32 s70, s55, s65
	s_add_u32 s68, s68, s71
	s_addc_u32 s70, 0, s70
	s_mul_hi_u32 s67, s2, s65
	s_add_u32 s66, s68, s66
	s_mul_i32 s65, s2, s65
	s_addc_u32 s66, s70, s69
	s_addc_u32 s67, s67, 0
	s_add_u32 s65, s66, s65
	s_addc_u32 s66, 0, s67
	s_add_u32 s55, s55, s65
	s_cselect_b32 s65, -1, 0
	v_mul_hi_u32 v42, v3, s55
	s_cmp_lg_u32 s65, 0
	v_mad_u64_u32 v[36:37], null, v41, s55, 0
	s_addc_u32 s2, s2, s66
	v_mad_u64_u32 v[32:33], null, v3, s2, 0
	v_mad_u64_u32 v[38:39], null, v41, s2, 0
	v_add_co_u32 v32, vcc_lo, v42, v32
	v_add_co_ci_u32_e64 v33, null, 0, v33, vcc_lo
	v_add_co_u32 v32, vcc_lo, v32, v36
	v_add_co_ci_u32_e32 v32, vcc_lo, v33, v37, vcc_lo
	v_add_co_ci_u32_e32 v33, vcc_lo, 0, v39, vcc_lo
	v_add_co_u32 v36, vcc_lo, v32, v38
	v_add_co_ci_u32_e64 v37, null, 0, v33, vcc_lo
	v_mul_lo_u32 v38, s57, v36
	v_mad_u64_u32 v[32:33], null, s56, v36, 0
	v_mul_lo_u32 v39, s56, v37
	v_sub_co_u32 v3, vcc_lo, v3, v32
	v_add3_u32 v33, v33, v39, v38
	v_sub_nc_u32_e32 v38, v41, v33
	v_sub_co_ci_u32_e64 v33, null, v41, v33, vcc_lo
	v_subrev_co_ci_u32_e64 v32, null, s57, v38, vcc_lo
	v_add_co_u32 v38, s2, v36, 2
	v_add_co_ci_u32_e64 v39, null, 0, v37, s2
	v_sub_co_u32 v42, s2, v3, s56
	v_subrev_co_ci_u32_e64 v32, null, 0, v32, s2
	v_cmp_le_u32_e32 vcc_lo, s56, v42
	v_cndmask_b32_e64 v41, 0, -1, vcc_lo
	v_cmp_le_u32_e32 vcc_lo, s57, v32
	v_cndmask_b32_e64 v42, 0, -1, vcc_lo
	;; [unrolled: 2-line block ×4, first 2 shown]
	v_cmp_eq_u32_e32 vcc_lo, s57, v32
	v_cndmask_b32_e32 v32, v42, v41, vcc_lo
	v_add_co_u32 v41, vcc_lo, v36, 1
	v_add_co_ci_u32_e64 v42, null, 0, v37, vcc_lo
	v_cmp_eq_u32_e32 vcc_lo, s57, v33
	v_xor_b32_e32 v33, s54, v40
	v_cndmask_b32_e32 v3, v43, v3, vcc_lo
	v_cmp_ne_u32_e32 vcc_lo, 0, v32
	v_cmp_ne_u32_e64 s2, 0, v3
	v_cndmask_b32_e32 v3, v41, v38, vcc_lo
	v_cndmask_b32_e32 v32, v42, v39, vcc_lo
	v_cndmask_b32_e64 v3, v36, v3, s2
	v_cndmask_b32_e64 v32, v37, v32, s2
	v_xor_b32_e32 v3, v3, v33
	v_xor_b32_e32 v36, v32, v33
	v_sub_co_u32 v32, vcc_lo, v3, v33
	v_sub_co_ci_u32_e64 v33, null, v36, v33, vcc_lo
.LBB4_55:                               ;   in Loop: Header=BB4_52 Depth=3
	s_andn2_saveexec_b32 s2, s64
	s_cbranch_execz .LBB4_57
; %bb.56:                               ;   in Loop: Header=BB4_52 Depth=3
	v_cvt_f32_u32_e32 v3, s46
	s_sub_i32 s54, 0, s46
	v_rcp_iflag_f32_e32 v3, v3
	v_mul_f32_e32 v3, 0x4f7ffffe, v3
	v_cvt_u32_f32_e32 v3, v3
	v_mul_lo_u32 v32, s54, v3
	v_mul_hi_u32 v32, v3, v32
	v_add_nc_u32_e32 v3, v3, v32
	v_mul_hi_u32 v3, v26, v3
	v_mul_lo_u32 v32, v3, s46
	v_add_nc_u32_e32 v33, 1, v3
	v_sub_nc_u32_e32 v32, v26, v32
	v_subrev_nc_u32_e32 v36, s46, v32
	v_cmp_le_u32_e32 vcc_lo, s46, v32
	v_cndmask_b32_e32 v32, v32, v36, vcc_lo
	v_cndmask_b32_e32 v3, v3, v33, vcc_lo
	v_cmp_le_u32_e32 vcc_lo, s46, v32
	v_add_nc_u32_e32 v33, 1, v3
	v_cndmask_b32_e32 v32, v3, v33, vcc_lo
	v_mov_b32_e32 v33, v2
.LBB4_57:                               ;   in Loop: Header=BB4_52 Depth=3
	s_or_b32 exec_lo, exec_lo, s2
	v_mul_lo_u32 v3, v33, s46
	v_mul_lo_u32 v38, v32, s47
	v_mad_u64_u32 v[36:37], null, v32, s46, 0
	s_mov_b32 s2, exec_lo
	v_add3_u32 v3, v37, v38, v3
	v_sub_co_u32 v36, vcc_lo, v26, v36
	v_sub_co_ci_u32_e64 v37, null, v27, v3, vcc_lo
	v_cmpx_eq_u64_e32 0, v[36:37]
	s_cbranch_execz .LBB4_50
; %bb.58:                               ;   in Loop: Header=BB4_52 Depth=3
	v_add_co_u32 v3, vcc_lo, v24, v32
	v_add_co_ci_u32_e64 v32, null, v25, v33, vcc_lo
	v_mul_lo_u32 v36, v3, s49
	v_mul_lo_u32 v37, v32, s48
	v_mad_u64_u32 v[32:33], null, v3, s48, v[18:19]
	v_add3_u32 v3, v37, v33, v36
	v_mul_lo_u32 v36, s29, v32
	v_mad_u64_u32 v[32:33], null, s28, v32, v[28:29]
	v_mul_lo_u32 v3, s28, v3
	v_add3_u32 v33, v36, v33, v3
	global_load_ushort v3, v[32:33], off
	s_waitcnt vmcnt(0)
	v_cvt_f32_f16_e32 v3, v3
	v_add_f32_e32 v35, v35, v3
	s_branch .LBB4_50
.LBB4_59:
	s_endpgm
	.section	.rodata,"a",@progbits
	.p2align	6, 0x0
	.amdhsa_kernel _ZN2at6native21col2im_batched_kernelIN3c104HalfEEEvlPKT_llllllllllllllPS4_l
		.amdhsa_group_segment_fixed_size 0
		.amdhsa_private_segment_fixed_size 0
		.amdhsa_kernarg_size 400
		.amdhsa_user_sgpr_count 6
		.amdhsa_user_sgpr_private_segment_buffer 1
		.amdhsa_user_sgpr_dispatch_ptr 0
		.amdhsa_user_sgpr_queue_ptr 0
		.amdhsa_user_sgpr_kernarg_segment_ptr 1
		.amdhsa_user_sgpr_dispatch_id 0
		.amdhsa_user_sgpr_flat_scratch_init 0
		.amdhsa_user_sgpr_private_segment_size 0
		.amdhsa_wavefront_size32 1
		.amdhsa_uses_dynamic_stack 0
		.amdhsa_system_sgpr_private_segment_wavefront_offset 0
		.amdhsa_system_sgpr_workgroup_id_x 1
		.amdhsa_system_sgpr_workgroup_id_y 0
		.amdhsa_system_sgpr_workgroup_id_z 0
		.amdhsa_system_sgpr_workgroup_info 0
		.amdhsa_system_vgpr_workitem_id 0
		.amdhsa_next_free_vgpr 44
		.amdhsa_next_free_sgpr 74
		.amdhsa_reserve_vcc 1
		.amdhsa_reserve_flat_scratch 0
		.amdhsa_float_round_mode_32 0
		.amdhsa_float_round_mode_16_64 0
		.amdhsa_float_denorm_mode_32 3
		.amdhsa_float_denorm_mode_16_64 3
		.amdhsa_dx10_clamp 1
		.amdhsa_ieee_mode 1
		.amdhsa_fp16_overflow 0
		.amdhsa_workgroup_processor_mode 1
		.amdhsa_memory_ordered 1
		.amdhsa_forward_progress 1
		.amdhsa_shared_vgpr_count 0
		.amdhsa_exception_fp_ieee_invalid_op 0
		.amdhsa_exception_fp_denorm_src 0
		.amdhsa_exception_fp_ieee_div_zero 0
		.amdhsa_exception_fp_ieee_overflow 0
		.amdhsa_exception_fp_ieee_underflow 0
		.amdhsa_exception_fp_ieee_inexact 0
		.amdhsa_exception_int_div_zero 0
	.end_amdhsa_kernel
	.section	.text._ZN2at6native21col2im_batched_kernelIN3c104HalfEEEvlPKT_llllllllllllllPS4_l,"axG",@progbits,_ZN2at6native21col2im_batched_kernelIN3c104HalfEEEvlPKT_llllllllllllllPS4_l,comdat
.Lfunc_end4:
	.size	_ZN2at6native21col2im_batched_kernelIN3c104HalfEEEvlPKT_llllllllllllllPS4_l, .Lfunc_end4-_ZN2at6native21col2im_batched_kernelIN3c104HalfEEEvlPKT_llllllllllllllPS4_l
                                        ; -- End function
	.set _ZN2at6native21col2im_batched_kernelIN3c104HalfEEEvlPKT_llllllllllllllPS4_l.num_vgpr, 44
	.set _ZN2at6native21col2im_batched_kernelIN3c104HalfEEEvlPKT_llllllllllllllPS4_l.num_agpr, 0
	.set _ZN2at6native21col2im_batched_kernelIN3c104HalfEEEvlPKT_llllllllllllllPS4_l.numbered_sgpr, 74
	.set _ZN2at6native21col2im_batched_kernelIN3c104HalfEEEvlPKT_llllllllllllllPS4_l.num_named_barrier, 0
	.set _ZN2at6native21col2im_batched_kernelIN3c104HalfEEEvlPKT_llllllllllllllPS4_l.private_seg_size, 0
	.set _ZN2at6native21col2im_batched_kernelIN3c104HalfEEEvlPKT_llllllllllllllPS4_l.uses_vcc, 1
	.set _ZN2at6native21col2im_batched_kernelIN3c104HalfEEEvlPKT_llllllllllllllPS4_l.uses_flat_scratch, 0
	.set _ZN2at6native21col2im_batched_kernelIN3c104HalfEEEvlPKT_llllllllllllllPS4_l.has_dyn_sized_stack, 0
	.set _ZN2at6native21col2im_batched_kernelIN3c104HalfEEEvlPKT_llllllllllllllPS4_l.has_recursion, 0
	.set _ZN2at6native21col2im_batched_kernelIN3c104HalfEEEvlPKT_llllllllllllllPS4_l.has_indirect_call, 0
	.section	.AMDGPU.csdata,"",@progbits
; Kernel info:
; codeLenInByte = 8968
; TotalNumSgprs: 76
; NumVgprs: 44
; ScratchSize: 0
; MemoryBound: 0
; FloatMode: 240
; IeeeMode: 1
; LDSByteSize: 0 bytes/workgroup (compile time only)
; SGPRBlocks: 0
; VGPRBlocks: 5
; NumSGPRsForWavesPerEU: 76
; NumVGPRsForWavesPerEU: 44
; Occupancy: 16
; WaveLimiterHint : 0
; COMPUTE_PGM_RSRC2:SCRATCH_EN: 0
; COMPUTE_PGM_RSRC2:USER_SGPR: 6
; COMPUTE_PGM_RSRC2:TRAP_HANDLER: 0
; COMPUTE_PGM_RSRC2:TGID_X_EN: 1
; COMPUTE_PGM_RSRC2:TGID_Y_EN: 0
; COMPUTE_PGM_RSRC2:TGID_Z_EN: 0
; COMPUTE_PGM_RSRC2:TIDIG_COMP_CNT: 0
	.section	.text._ZN2at6native21col2im_batched_kernelIN3c108BFloat16EEEvlPKT_llllllllllllllPS4_l,"axG",@progbits,_ZN2at6native21col2im_batched_kernelIN3c108BFloat16EEEvlPKT_llllllllllllllPS4_l,comdat
	.protected	_ZN2at6native21col2im_batched_kernelIN3c108BFloat16EEEvlPKT_llllllllllllllPS4_l ; -- Begin function _ZN2at6native21col2im_batched_kernelIN3c108BFloat16EEEvlPKT_llllllllllllllPS4_l
	.globl	_ZN2at6native21col2im_batched_kernelIN3c108BFloat16EEEvlPKT_llllllllllllllPS4_l
	.p2align	8
	.type	_ZN2at6native21col2im_batched_kernelIN3c108BFloat16EEEvlPKT_llllllllllllllPS4_l,@function
_ZN2at6native21col2im_batched_kernelIN3c108BFloat16EEEvlPKT_llllllllllllllPS4_l: ; @_ZN2at6native21col2im_batched_kernelIN3c108BFloat16EEEvlPKT_llllllllllllllPS4_l
; %bb.0:
	s_clause 0x1
	s_load_dwordx16 s[8:23], s[4:5], 0x0
	s_load_dword s2, s[4:5], 0x9c
	v_mov_b32_e32 v2, 0
	v_mov_b32_e32 v1, v2
	s_waitcnt lgkmcnt(0)
	s_mul_i32 s0, s14, s9
	s_mul_hi_u32 s1, s14, s8
	s_mul_i32 s3, s15, s8
	s_add_i32 s0, s1, s0
	s_mul_i32 s14, s14, s8
	s_add_i32 s15, s0, s3
	s_add_u32 s0, s4, 0x90
	s_addc_u32 s1, s5, 0
	s_and_b32 s2, s2, 0xffff
	s_mov_b32 s3, exec_lo
	v_mad_u64_u32 v[0:1], null, s2, s6, v[0:1]
	v_cmpx_gt_i64_e64 s[14:15], v[0:1]
	s_cbranch_execz .LBB5_59
; %bb.1:
	s_load_dwordx16 s[36:51], s[4:5], 0x40
	s_load_dword s0, s[0:1], 0x0
	v_cvt_f32_u32_e32 v3, s8
	s_mul_i32 s1, s18, s17
	s_mul_hi_u32 s3, s18, s16
	s_mul_i32 s24, s19, s16
	s_add_i32 s1, s3, s1
	s_load_dwordx4 s[4:7], s[4:5], 0x80
	v_rcp_iflag_f32_e32 v3, v3
	s_add_i32 s59, s1, s24
	s_add_u32 s1, s22, -1
	s_addc_u32 s3, s23, -1
	s_mul_i32 s33, s18, s16
	s_mov_b32 s58, 0
	v_mul_f32_e32 v3, 0x4f7ffffe, v3
	s_waitcnt lgkmcnt(0)
	s_mul_i32 s3, s46, s3
	s_mul_hi_u32 s25, s46, s1
	s_mul_i32 s26, s47, s1
	s_mul_i32 s60, s0, s2
	s_add_i32 s0, s25, s3
	s_mul_i32 s24, s46, s1
	s_add_i32 s25, s0, s26
	s_add_u32 s0, s20, -1
	s_addc_u32 s1, s21, -1
	s_mul_hi_u32 s2, s44, s0
	s_mul_i32 s1, s44, s1
	s_mul_i32 s3, s45, s0
	s_add_i32 s1, s2, s1
	v_cvt_u32_f32_e32 v34, v3
	s_mul_i32 s30, s44, s0
	s_add_i32 s31, s1, s3
	s_not_b64 s[26:27], s[24:25]
	s_lshl_b64 s[28:29], s[50:51], 1
	s_lshl_b64 s[12:13], s[12:13], 1
	s_not_b64 s[34:35], s[30:31]
	s_ashr_i32 s52, s9, 31
	s_branch .LBB5_4
.LBB5_2:                                ;   in Loop: Header=BB5_4 Depth=1
	s_or_b32 exec_lo, exec_lo, s61
.LBB5_3:                                ;   in Loop: Header=BB5_4 Depth=1
	s_or_b32 exec_lo, exec_lo, s53
	v_mul_lo_u32 v5, v5, s6
	v_mul_lo_u32 v8, v4, s7
	v_mad_u64_u32 v[3:4], null, v4, s6, 0
	v_bfe_u32 v9, v35, 16, 1
	v_add_co_u32 v0, vcc_lo, v0, s60
	v_add_co_ci_u32_e64 v1, null, 0, v1, vcc_lo
	v_add3_u32 v4, v4, v8, v5
	v_add3_u32 v8, v35, v9, 0x7fff
	v_lshlrev_b64 v[5:6], 1, v[6:7]
	v_cmp_le_i64_e32 vcc_lo, s[14:15], v[0:1]
	v_lshlrev_b64 v[3:4], 1, v[3:4]
	v_lshrrev_b32_e32 v7, 16, v8
	s_or_b32 s58, vcc_lo, s58
	v_add_co_u32 v3, s0, s4, v3
	v_add_co_ci_u32_e64 v4, null, s5, v4, s0
	v_cmp_o_f32_e64 s0, v35, v35
	v_cndmask_b32_e64 v7, 0x7fc0, v7, s0
	v_add_co_u32 v3, s0, v3, v5
	v_add_co_ci_u32_e64 v4, null, v4, v6, s0
	global_store_short v[3:4], v7, off
	s_andn2_b32 exec_lo, exec_lo, s58
	s_cbranch_execz .LBB5_59
.LBB5_4:                                ; =>This Loop Header: Depth=1
                                        ;     Child Loop BB5_44 Depth 2
                                        ;       Child Loop BB5_52 Depth 3
	v_or_b32_e32 v3, s9, v1
                                        ; implicit-def: $vgpr4_vgpr5
	s_mov_b32 s0, exec_lo
	v_cmpx_ne_u64_e32 0, v[2:3]
	s_xor_b32 s1, exec_lo, s0
	s_cbranch_execz .LBB5_6
; %bb.5:                                ;   in Loop: Header=BB5_4 Depth=1
	s_add_u32 s2, s8, s52
	s_mov_b32 s53, s52
	s_addc_u32 s3, s9, s52
	v_ashrrev_i32_e32 v9, 31, v1
	s_xor_b64 s[2:3], s[2:3], s[52:53]
	v_cvt_f32_u32_e32 v3, s2
	v_cvt_f32_u32_e32 v4, s3
	s_sub_u32 s0, 0, s2
	s_subb_u32 s55, 0, s3
	v_add_co_u32 v5, vcc_lo, v0, v9
	v_fmac_f32_e32 v3, 0x4f800000, v4
	v_xor_b32_e32 v10, v5, v9
	v_rcp_f32_e32 v3, v3
	v_mul_f32_e32 v3, 0x5f7ffffc, v3
	v_mul_f32_e32 v4, 0x2f800000, v3
	v_trunc_f32_e32 v4, v4
	v_fmac_f32_e32 v3, 0xcf800000, v4
	v_cvt_u32_f32_e32 v4, v4
	v_cvt_u32_f32_e32 v3, v3
	v_readfirstlane_b32 s53, v4
	v_readfirstlane_b32 s54, v3
	s_mul_i32 s56, s0, s53
	v_add_co_ci_u32_e64 v3, null, v1, v9, vcc_lo
	s_mul_hi_u32 s61, s0, s54
	s_mul_i32 s57, s55, s54
	s_add_i32 s56, s61, s56
	s_mul_i32 s62, s0, s54
	s_add_i32 s56, s56, s57
	s_mul_hi_u32 s61, s54, s62
	s_mul_i32 s64, s54, s56
	s_mul_hi_u32 s63, s53, s62
	s_mul_i32 s57, s53, s62
	s_mul_hi_u32 s62, s54, s56
	s_add_u32 s61, s61, s64
	s_addc_u32 s62, 0, s62
	s_mul_hi_u32 s65, s53, s56
	s_add_u32 s57, s61, s57
	s_mul_i32 s56, s53, s56
	s_addc_u32 s57, s62, s63
	s_addc_u32 s61, s65, 0
	s_add_u32 s56, s57, s56
	s_addc_u32 s57, 0, s61
	s_add_u32 s54, s54, s56
	s_cselect_b32 s56, -1, 0
	s_mul_hi_u32 s61, s0, s54
	s_cmp_lg_u32 s56, 0
	s_mul_i32 s56, s0, s54
	s_addc_u32 s53, s53, s57
	s_mul_i32 s55, s55, s54
	s_mul_i32 s0, s0, s53
	s_mul_hi_u32 s57, s54, s56
	s_add_i32 s0, s61, s0
	s_mul_hi_u32 s61, s53, s56
	s_add_i32 s0, s0, s55
	s_mul_i32 s55, s53, s56
	s_mul_i32 s63, s54, s0
	s_mul_hi_u32 s62, s54, s0
	s_add_u32 s57, s57, s63
	s_addc_u32 s62, 0, s62
	s_mul_hi_u32 s56, s53, s0
	s_add_u32 s55, s57, s55
	s_mul_i32 s0, s53, s0
	s_addc_u32 s55, s62, s61
	s_addc_u32 s56, s56, 0
	s_add_u32 s0, s55, s0
	s_addc_u32 s55, 0, s56
	s_add_u32 s0, s54, s0
	s_cselect_b32 s54, -1, 0
	v_xor_b32_e32 v11, v3, v9
	s_cmp_lg_u32 s54, 0
	v_mul_hi_u32 v12, v10, s0
	s_addc_u32 s53, s53, s55
	v_mad_u64_u32 v[3:4], null, v10, s53, 0
	v_mad_u64_u32 v[5:6], null, v11, s0, 0
	;; [unrolled: 1-line block ×3, first 2 shown]
	v_add_co_u32 v3, vcc_lo, v12, v3
	v_add_co_ci_u32_e64 v4, null, 0, v4, vcc_lo
	v_add_co_u32 v3, vcc_lo, v3, v5
	v_add_co_ci_u32_e32 v3, vcc_lo, v4, v6, vcc_lo
	v_add_co_ci_u32_e32 v4, vcc_lo, 0, v8, vcc_lo
	v_add_co_u32 v5, vcc_lo, v3, v7
	v_add_co_ci_u32_e64 v6, null, 0, v4, vcc_lo
	v_mul_lo_u32 v7, s3, v5
	v_mad_u64_u32 v[3:4], null, s2, v5, 0
	v_mul_lo_u32 v8, s2, v6
	v_sub_co_u32 v3, vcc_lo, v10, v3
	v_add3_u32 v4, v4, v8, v7
	v_add_co_u32 v8, s0, v5, 2
	v_add_co_ci_u32_e64 v10, null, 0, v6, s0
	v_sub_nc_u32_e32 v7, v11, v4
	v_sub_co_u32 v12, s0, v3, s2
	v_sub_co_ci_u32_e64 v4, null, v11, v4, vcc_lo
	v_subrev_co_ci_u32_e64 v7, null, s3, v7, vcc_lo
	v_cmp_le_u32_e32 vcc_lo, s2, v12
	v_subrev_co_ci_u32_e64 v7, null, 0, v7, s0
	v_cndmask_b32_e64 v11, 0, -1, vcc_lo
	v_cmp_le_u32_e32 vcc_lo, s3, v7
	v_cndmask_b32_e64 v12, 0, -1, vcc_lo
	v_cmp_le_u32_e32 vcc_lo, s2, v3
	v_cndmask_b32_e64 v3, 0, -1, vcc_lo
	v_cmp_le_u32_e32 vcc_lo, s3, v4
	v_cndmask_b32_e64 v13, 0, -1, vcc_lo
	v_cmp_eq_u32_e32 vcc_lo, s3, v7
	v_cndmask_b32_e32 v7, v12, v11, vcc_lo
	v_add_co_u32 v11, vcc_lo, v5, 1
	v_add_co_ci_u32_e64 v12, null, 0, v6, vcc_lo
	v_cmp_eq_u32_e32 vcc_lo, s3, v4
	v_cndmask_b32_e32 v3, v13, v3, vcc_lo
	v_cmp_ne_u32_e32 vcc_lo, 0, v7
	v_xor_b32_e32 v7, s52, v9
	v_cmp_ne_u32_e64 s0, 0, v3
	v_cndmask_b32_e32 v3, v11, v8, vcc_lo
	v_cndmask_b32_e32 v4, v12, v10, vcc_lo
	v_cndmask_b32_e64 v3, v5, v3, s0
	v_cndmask_b32_e64 v4, v6, v4, s0
	v_xor_b32_e32 v3, v3, v7
	v_xor_b32_e32 v5, v4, v7
	v_sub_co_u32 v4, vcc_lo, v3, v7
	v_sub_co_ci_u32_e64 v5, null, v5, v7, vcc_lo
.LBB5_6:                                ;   in Loop: Header=BB5_4 Depth=1
	s_andn2_saveexec_b32 s0, s1
	s_cbranch_execz .LBB5_8
; %bb.7:                                ;   in Loop: Header=BB5_4 Depth=1
	s_sub_i32 s1, 0, s8
	v_mul_lo_u32 v3, s1, v34
	v_mul_hi_u32 v3, v34, v3
	v_add_nc_u32_e32 v3, v34, v3
	v_mul_hi_u32 v3, v0, v3
	v_mul_lo_u32 v4, v3, s8
	v_add_nc_u32_e32 v5, 1, v3
	v_sub_nc_u32_e32 v4, v0, v4
	v_subrev_nc_u32_e32 v6, s8, v4
	v_cmp_le_u32_e32 vcc_lo, s8, v4
	v_cndmask_b32_e32 v4, v4, v6, vcc_lo
	v_cndmask_b32_e32 v3, v3, v5, vcc_lo
	v_cmp_le_u32_e32 vcc_lo, s8, v4
	v_add_nc_u32_e32 v5, 1, v3
	v_cndmask_b32_e32 v4, v3, v5, vcc_lo
	v_mov_b32_e32 v5, v2
.LBB5_8:                                ;   in Loop: Header=BB5_4 Depth=1
	s_or_b32 exec_lo, exec_lo, s0
	v_mul_lo_u32 v3, v5, s8
	v_mul_lo_u32 v6, v4, s9
	v_mad_u64_u32 v[8:9], null, v4, s8, 0
                                        ; implicit-def: $vgpr10_vgpr11
	s_mov_b32 s0, exec_lo
	v_add3_u32 v9, v9, v6, v3
	v_sub_co_u32 v6, vcc_lo, v0, v8
	v_sub_co_ci_u32_e64 v7, null, v1, v9, vcc_lo
	v_or_b32_e32 v3, s19, v7
	v_ashrrev_i32_e32 v16, 31, v7
	v_cmpx_ne_u64_e32 0, v[2:3]
	s_xor_b32 s1, exec_lo, s0
	s_cbranch_execz .LBB5_10
; %bb.9:                                ;   in Loop: Header=BB5_4 Depth=1
	s_ashr_i32 s2, s19, 31
	v_add_co_u32 v11, vcc_lo, v6, v16
	s_add_u32 s54, s18, s2
	s_mov_b32 s3, s2
	s_addc_u32 s55, s19, s2
	v_add_co_ci_u32_e64 v12, null, v7, v16, vcc_lo
	s_xor_b64 s[54:55], s[54:55], s[2:3]
	v_cvt_f32_u32_e32 v3, s54
	v_cvt_f32_u32_e32 v10, s55
	s_sub_u32 s53, 0, s54
	s_subb_u32 s56, 0, s55
	v_xor_b32_e32 v17, v12, v16
	v_fmac_f32_e32 v3, 0x4f800000, v10
	v_rcp_f32_e32 v3, v3
	v_mul_f32_e32 v3, 0x5f7ffffc, v3
	v_mul_f32_e32 v10, 0x2f800000, v3
	v_trunc_f32_e32 v10, v10
	v_fmac_f32_e32 v3, 0xcf800000, v10
	v_cvt_u32_f32_e32 v10, v10
	v_cvt_u32_f32_e32 v3, v3
	v_readfirstlane_b32 s0, v10
	v_readfirstlane_b32 s3, v3
	s_mul_i32 s57, s53, s0
	v_xor_b32_e32 v3, v11, v16
	s_mul_hi_u32 s62, s53, s3
	s_mul_i32 s61, s56, s3
	s_add_i32 s57, s62, s57
	s_mul_i32 s63, s53, s3
	s_add_i32 s57, s57, s61
	s_mul_hi_u32 s62, s3, s63
	s_mul_i32 s65, s3, s57
	s_mul_hi_u32 s64, s0, s63
	s_mul_i32 s61, s0, s63
	s_mul_hi_u32 s63, s3, s57
	s_add_u32 s62, s62, s65
	s_addc_u32 s63, 0, s63
	s_mul_hi_u32 s66, s0, s57
	s_add_u32 s61, s62, s61
	s_mul_i32 s57, s0, s57
	s_addc_u32 s61, s63, s64
	s_addc_u32 s62, s66, 0
	s_add_u32 s57, s61, s57
	s_addc_u32 s61, 0, s62
	s_add_u32 s3, s3, s57
	s_cselect_b32 s57, -1, 0
	s_mul_hi_u32 s62, s53, s3
	s_cmp_lg_u32 s57, 0
	s_mul_i32 s57, s53, s3
	s_addc_u32 s0, s0, s61
	s_mul_i32 s56, s56, s3
	s_mul_i32 s53, s53, s0
	s_mul_hi_u32 s61, s3, s57
	s_add_i32 s53, s62, s53
	s_mul_hi_u32 s62, s0, s57
	s_add_i32 s53, s53, s56
	s_mul_i32 s56, s0, s57
	s_mul_i32 s64, s3, s53
	s_mul_hi_u32 s63, s3, s53
	s_add_u32 s61, s61, s64
	s_addc_u32 s63, 0, s63
	s_mul_hi_u32 s57, s0, s53
	s_add_u32 s56, s61, s56
	s_mul_i32 s53, s0, s53
	s_addc_u32 s56, s63, s62
	s_addc_u32 s57, s57, 0
	s_add_u32 s53, s56, s53
	s_addc_u32 s56, 0, s57
	s_add_u32 s3, s3, s53
	s_cselect_b32 s53, -1, 0
	v_mul_hi_u32 v18, v3, s3
	s_cmp_lg_u32 s53, 0
	v_mad_u64_u32 v[12:13], null, v17, s3, 0
	s_addc_u32 s0, s0, s56
	v_mad_u64_u32 v[10:11], null, v3, s0, 0
	v_mad_u64_u32 v[14:15], null, v17, s0, 0
	v_add_co_u32 v10, vcc_lo, v18, v10
	v_add_co_ci_u32_e64 v11, null, 0, v11, vcc_lo
	v_add_co_u32 v10, vcc_lo, v10, v12
	v_add_co_ci_u32_e32 v10, vcc_lo, v11, v13, vcc_lo
	v_add_co_ci_u32_e32 v11, vcc_lo, 0, v15, vcc_lo
	v_add_co_u32 v12, vcc_lo, v10, v14
	v_add_co_ci_u32_e64 v13, null, 0, v11, vcc_lo
	v_mul_lo_u32 v14, s55, v12
	v_mad_u64_u32 v[10:11], null, s54, v12, 0
	v_mul_lo_u32 v15, s54, v13
	v_sub_co_u32 v3, vcc_lo, v3, v10
	v_add3_u32 v11, v11, v15, v14
	v_sub_nc_u32_e32 v14, v17, v11
	v_sub_co_ci_u32_e64 v11, null, v17, v11, vcc_lo
	v_subrev_co_ci_u32_e64 v10, null, s55, v14, vcc_lo
	v_add_co_u32 v14, s0, v12, 2
	v_add_co_ci_u32_e64 v15, null, 0, v13, s0
	v_sub_co_u32 v18, s0, v3, s54
	v_subrev_co_ci_u32_e64 v10, null, 0, v10, s0
	v_cmp_le_u32_e32 vcc_lo, s54, v18
	v_cndmask_b32_e64 v17, 0, -1, vcc_lo
	v_cmp_le_u32_e32 vcc_lo, s55, v10
	v_cndmask_b32_e64 v18, 0, -1, vcc_lo
	;; [unrolled: 2-line block ×4, first 2 shown]
	v_cmp_eq_u32_e32 vcc_lo, s55, v10
	v_cndmask_b32_e32 v10, v18, v17, vcc_lo
	v_add_co_u32 v17, vcc_lo, v12, 1
	v_add_co_ci_u32_e64 v18, null, 0, v13, vcc_lo
	v_cmp_eq_u32_e32 vcc_lo, s55, v11
	v_xor_b32_e32 v11, s2, v16
	v_cndmask_b32_e32 v3, v19, v3, vcc_lo
	v_cmp_ne_u32_e32 vcc_lo, 0, v10
	v_cmp_ne_u32_e64 s0, 0, v3
	v_cndmask_b32_e32 v3, v17, v14, vcc_lo
	v_cndmask_b32_e32 v10, v18, v15, vcc_lo
	v_cndmask_b32_e64 v3, v12, v3, s0
	v_cndmask_b32_e64 v10, v13, v10, s0
	v_xor_b32_e32 v3, v3, v11
	v_xor_b32_e32 v12, v10, v11
	v_sub_co_u32 v10, vcc_lo, v3, v11
	v_sub_co_ci_u32_e64 v11, null, v12, v11, vcc_lo
.LBB5_10:                               ;   in Loop: Header=BB5_4 Depth=1
	s_andn2_saveexec_b32 s0, s1
	s_cbranch_execz .LBB5_12
; %bb.11:                               ;   in Loop: Header=BB5_4 Depth=1
	v_cvt_f32_u32_e32 v3, s18
	s_sub_i32 s1, 0, s18
	v_rcp_iflag_f32_e32 v3, v3
	v_mul_f32_e32 v3, 0x4f7ffffe, v3
	v_cvt_u32_f32_e32 v3, v3
	v_mul_lo_u32 v10, s1, v3
	v_mul_hi_u32 v10, v3, v10
	v_add_nc_u32_e32 v3, v3, v10
	v_mul_hi_u32 v3, v6, v3
	v_mul_lo_u32 v10, v3, s18
	v_add_nc_u32_e32 v11, 1, v3
	v_sub_nc_u32_e32 v10, v6, v10
	v_subrev_nc_u32_e32 v12, s18, v10
	v_cmp_le_u32_e32 vcc_lo, s18, v10
	v_cndmask_b32_e32 v10, v10, v12, vcc_lo
	v_cndmask_b32_e32 v3, v3, v11, vcc_lo
	v_cmp_le_u32_e32 vcc_lo, s18, v10
	v_add_nc_u32_e32 v11, 1, v3
	v_cndmask_b32_e32 v10, v3, v11, vcc_lo
	v_mov_b32_e32 v11, v2
.LBB5_12:                               ;   in Loop: Header=BB5_4 Depth=1
	s_or_b32 exec_lo, exec_lo, s0
	v_or_b32_e32 v3, s17, v11
                                        ; implicit-def: $vgpr12_vgpr13
	s_mov_b32 s0, exec_lo
	v_cmpx_ne_u64_e32 0, v[2:3]
	s_xor_b32 s1, exec_lo, s0
	s_cbranch_execz .LBB5_14
; %bb.13:                               ;   in Loop: Header=BB5_4 Depth=1
	s_ashr_i32 s2, s17, 31
	v_ashrrev_i32_e32 v19, 31, v11
	s_add_u32 s54, s16, s2
	s_mov_b32 s3, s2
	s_addc_u32 s55, s17, s2
	s_xor_b64 s[2:3], s[54:55], s[2:3]
	v_add_co_u32 v13, vcc_lo, v10, v19
	v_cvt_f32_u32_e32 v3, s2
	v_cvt_f32_u32_e32 v12, s3
	s_sub_u32 s54, 0, s2
	s_subb_u32 s55, 0, s3
	v_add_co_ci_u32_e64 v14, null, v11, v19, vcc_lo
	v_fmac_f32_e32 v3, 0x4f800000, v12
	v_xor_b32_e32 v20, v14, v19
	v_rcp_f32_e32 v3, v3
	v_mul_f32_e32 v3, 0x5f7ffffc, v3
	v_mul_f32_e32 v12, 0x2f800000, v3
	v_trunc_f32_e32 v12, v12
	v_fmac_f32_e32 v3, 0xcf800000, v12
	v_cvt_u32_f32_e32 v12, v12
	v_cvt_u32_f32_e32 v3, v3
	v_readfirstlane_b32 s0, v12
	v_readfirstlane_b32 s53, v3
	s_mul_i32 s56, s54, s0
	v_xor_b32_e32 v3, v13, v19
	s_mul_hi_u32 s61, s54, s53
	s_mul_i32 s57, s55, s53
	s_add_i32 s56, s61, s56
	s_mul_i32 s62, s54, s53
	s_add_i32 s56, s56, s57
	s_mul_hi_u32 s61, s53, s62
	s_mul_i32 s64, s53, s56
	s_mul_hi_u32 s63, s0, s62
	s_mul_i32 s57, s0, s62
	s_mul_hi_u32 s62, s53, s56
	s_add_u32 s61, s61, s64
	s_addc_u32 s62, 0, s62
	s_mul_hi_u32 s65, s0, s56
	s_add_u32 s57, s61, s57
	s_mul_i32 s56, s0, s56
	s_addc_u32 s57, s62, s63
	s_addc_u32 s61, s65, 0
	s_add_u32 s56, s57, s56
	s_addc_u32 s57, 0, s61
	s_add_u32 s53, s53, s56
	s_cselect_b32 s56, -1, 0
	s_mul_hi_u32 s61, s54, s53
	s_cmp_lg_u32 s56, 0
	s_mul_i32 s56, s54, s53
	s_addc_u32 s0, s0, s57
	s_mul_i32 s55, s55, s53
	s_mul_i32 s54, s54, s0
	s_mul_hi_u32 s57, s53, s56
	s_add_i32 s54, s61, s54
	s_mul_hi_u32 s61, s0, s56
	s_add_i32 s54, s54, s55
	s_mul_i32 s55, s0, s56
	s_mul_i32 s63, s53, s54
	s_mul_hi_u32 s62, s53, s54
	s_add_u32 s57, s57, s63
	s_addc_u32 s62, 0, s62
	s_mul_hi_u32 s56, s0, s54
	s_add_u32 s55, s57, s55
	s_mul_i32 s54, s0, s54
	s_addc_u32 s55, s62, s61
	s_addc_u32 s56, s56, 0
	s_add_u32 s54, s55, s54
	s_addc_u32 s55, 0, s56
	s_add_u32 s53, s53, s54
	s_cselect_b32 s54, -1, 0
	v_mul_hi_u32 v21, v3, s53
	s_cmp_lg_u32 s54, 0
	v_mad_u64_u32 v[14:15], null, v20, s53, 0
	s_addc_u32 s0, s0, s55
	v_mad_u64_u32 v[12:13], null, v3, s0, 0
	v_mad_u64_u32 v[17:18], null, v20, s0, 0
	v_add_co_u32 v12, vcc_lo, v21, v12
	v_add_co_ci_u32_e64 v13, null, 0, v13, vcc_lo
	v_add_co_u32 v12, vcc_lo, v12, v14
	v_add_co_ci_u32_e32 v12, vcc_lo, v13, v15, vcc_lo
	v_add_co_ci_u32_e32 v13, vcc_lo, 0, v18, vcc_lo
	v_add_co_u32 v12, vcc_lo, v12, v17
	v_add_co_ci_u32_e64 v14, null, 0, v13, vcc_lo
	v_mul_lo_u32 v15, s3, v12
	v_mad_u64_u32 v[12:13], null, s2, v12, 0
	v_mul_lo_u32 v14, s2, v14
	v_sub_co_u32 v3, vcc_lo, v3, v12
	v_add3_u32 v13, v13, v14, v15
	v_cmp_le_u32_e64 s0, s2, v3
	v_sub_nc_u32_e32 v14, v20, v13
	v_sub_co_ci_u32_e64 v13, null, v20, v13, vcc_lo
	v_cndmask_b32_e64 v17, 0, -1, s0
	v_subrev_co_ci_u32_e64 v12, null, s3, v14, vcc_lo
	v_sub_co_u32 v14, vcc_lo, v3, s2
	v_subrev_co_ci_u32_e64 v15, null, 0, v12, vcc_lo
	v_cmp_le_u32_e64 s0, s2, v14
	v_subrev_co_ci_u32_e64 v12, null, s3, v12, vcc_lo
	v_cmp_le_u32_e32 vcc_lo, s3, v13
	v_cndmask_b32_e64 v18, 0, -1, s0
	v_cmp_le_u32_e64 s0, s3, v15
	v_cndmask_b32_e64 v21, 0, -1, vcc_lo
	v_cmp_eq_u32_e32 vcc_lo, s3, v15
	v_cndmask_b32_e64 v20, 0, -1, s0
	v_cmp_eq_u32_e64 s0, s3, v13
	v_cndmask_b32_e32 v18, v20, v18, vcc_lo
	v_sub_co_u32 v20, vcc_lo, v14, s2
	v_subrev_co_ci_u32_e64 v12, null, 0, v12, vcc_lo
	v_cmp_ne_u32_e32 vcc_lo, 0, v18
	v_cndmask_b32_e64 v17, v21, v17, s0
	v_cndmask_b32_e32 v12, v15, v12, vcc_lo
	v_cndmask_b32_e32 v14, v14, v20, vcc_lo
	v_cmp_ne_u32_e32 vcc_lo, 0, v17
	v_cndmask_b32_e32 v3, v3, v14, vcc_lo
	v_cndmask_b32_e32 v12, v13, v12, vcc_lo
	v_xor_b32_e32 v3, v3, v19
	v_xor_b32_e32 v13, v12, v19
	v_sub_co_u32 v12, vcc_lo, v3, v19
	v_sub_co_ci_u32_e64 v13, null, v13, v19, vcc_lo
.LBB5_14:                               ;   in Loop: Header=BB5_4 Depth=1
	s_andn2_saveexec_b32 s0, s1
	s_cbranch_execz .LBB5_16
; %bb.15:                               ;   in Loop: Header=BB5_4 Depth=1
	v_cvt_f32_u32_e32 v3, s16
	s_sub_i32 s1, 0, s16
	v_mov_b32_e32 v13, v2
	v_rcp_iflag_f32_e32 v3, v3
	v_mul_f32_e32 v3, 0x4f7ffffe, v3
	v_cvt_u32_f32_e32 v3, v3
	v_mul_lo_u32 v12, s1, v3
	v_mul_hi_u32 v12, v3, v12
	v_add_nc_u32_e32 v3, v3, v12
	v_mul_hi_u32 v3, v10, v3
	v_mul_lo_u32 v3, v3, s16
	v_sub_nc_u32_e32 v3, v10, v3
	v_subrev_nc_u32_e32 v12, s16, v3
	v_cmp_le_u32_e32 vcc_lo, s16, v3
	v_cndmask_b32_e32 v3, v3, v12, vcc_lo
	v_subrev_nc_u32_e32 v12, s16, v3
	v_cmp_le_u32_e32 vcc_lo, s16, v3
	v_cndmask_b32_e32 v12, v3, v12, vcc_lo
.LBB5_16:                               ;   in Loop: Header=BB5_4 Depth=1
	s_or_b32 exec_lo, exec_lo, s0
	v_or_b32_e32 v3, s59, v7
                                        ; implicit-def: $vgpr14_vgpr15
	s_mov_b32 s0, exec_lo
	v_cmpx_ne_u64_e32 0, v[2:3]
	s_xor_b32 s1, exec_lo, s0
	s_cbranch_execz .LBB5_18
; %bb.17:                               ;   in Loop: Header=BB5_4 Depth=1
	s_ashr_i32 s2, s59, 31
	v_add_co_u32 v15, vcc_lo, v6, v16
	s_add_u32 s54, s33, s2
	s_mov_b32 s3, s2
	s_addc_u32 s55, s59, s2
	v_add_co_ci_u32_e64 v17, null, v7, v16, vcc_lo
	s_xor_b64 s[54:55], s[54:55], s[2:3]
	v_cvt_f32_u32_e32 v3, s54
	v_cvt_f32_u32_e32 v14, s55
	s_sub_u32 s53, 0, s54
	s_subb_u32 s56, 0, s55
	v_xor_b32_e32 v21, v17, v16
	v_fmac_f32_e32 v3, 0x4f800000, v14
	v_rcp_f32_e32 v3, v3
	v_mul_f32_e32 v3, 0x5f7ffffc, v3
	v_mul_f32_e32 v14, 0x2f800000, v3
	v_trunc_f32_e32 v14, v14
	v_fmac_f32_e32 v3, 0xcf800000, v14
	v_cvt_u32_f32_e32 v14, v14
	v_cvt_u32_f32_e32 v3, v3
	v_readfirstlane_b32 s0, v14
	v_readfirstlane_b32 s3, v3
	s_mul_i32 s57, s53, s0
	v_xor_b32_e32 v3, v15, v16
	s_mul_hi_u32 s62, s53, s3
	s_mul_i32 s61, s56, s3
	s_add_i32 s57, s62, s57
	s_mul_i32 s63, s53, s3
	s_add_i32 s57, s57, s61
	s_mul_hi_u32 s62, s3, s63
	s_mul_i32 s65, s3, s57
	s_mul_hi_u32 s64, s0, s63
	s_mul_i32 s61, s0, s63
	s_mul_hi_u32 s63, s3, s57
	s_add_u32 s62, s62, s65
	s_addc_u32 s63, 0, s63
	s_mul_hi_u32 s66, s0, s57
	s_add_u32 s61, s62, s61
	s_mul_i32 s57, s0, s57
	s_addc_u32 s61, s63, s64
	s_addc_u32 s62, s66, 0
	s_add_u32 s57, s61, s57
	s_addc_u32 s61, 0, s62
	s_add_u32 s3, s3, s57
	s_cselect_b32 s57, -1, 0
	s_mul_hi_u32 s62, s53, s3
	s_cmp_lg_u32 s57, 0
	s_mul_i32 s57, s53, s3
	s_addc_u32 s0, s0, s61
	s_mul_i32 s56, s56, s3
	s_mul_i32 s53, s53, s0
	s_mul_hi_u32 s61, s3, s57
	s_add_i32 s53, s62, s53
	s_mul_hi_u32 s62, s0, s57
	s_add_i32 s53, s53, s56
	s_mul_i32 s56, s0, s57
	s_mul_i32 s64, s3, s53
	s_mul_hi_u32 s63, s3, s53
	s_add_u32 s61, s61, s64
	s_addc_u32 s63, 0, s63
	s_mul_hi_u32 s57, s0, s53
	s_add_u32 s56, s61, s56
	s_mul_i32 s53, s0, s53
	s_addc_u32 s56, s63, s62
	s_addc_u32 s57, s57, 0
	s_add_u32 s53, s56, s53
	s_addc_u32 s56, 0, s57
	s_add_u32 s3, s3, s53
	s_cselect_b32 s53, -1, 0
	v_mul_hi_u32 v22, v3, s3
	s_cmp_lg_u32 s53, 0
	v_mad_u64_u32 v[17:18], null, v21, s3, 0
	s_addc_u32 s0, s0, s56
	v_mad_u64_u32 v[14:15], null, v3, s0, 0
	v_mad_u64_u32 v[19:20], null, v21, s0, 0
	v_add_co_u32 v14, vcc_lo, v22, v14
	v_add_co_ci_u32_e64 v15, null, 0, v15, vcc_lo
	v_add_co_u32 v14, vcc_lo, v14, v17
	v_add_co_ci_u32_e32 v14, vcc_lo, v15, v18, vcc_lo
	v_add_co_ci_u32_e32 v15, vcc_lo, 0, v20, vcc_lo
	v_add_co_u32 v17, vcc_lo, v14, v19
	v_add_co_ci_u32_e64 v18, null, 0, v15, vcc_lo
	v_mul_lo_u32 v19, s55, v17
	v_mad_u64_u32 v[14:15], null, s54, v17, 0
	v_mul_lo_u32 v20, s54, v18
	v_sub_co_u32 v3, vcc_lo, v3, v14
	v_add3_u32 v15, v15, v20, v19
	v_sub_nc_u32_e32 v19, v21, v15
	v_sub_co_ci_u32_e64 v15, null, v21, v15, vcc_lo
	v_subrev_co_ci_u32_e64 v14, null, s55, v19, vcc_lo
	v_add_co_u32 v19, s0, v17, 2
	v_add_co_ci_u32_e64 v20, null, 0, v18, s0
	v_sub_co_u32 v22, s0, v3, s54
	v_subrev_co_ci_u32_e64 v14, null, 0, v14, s0
	v_cmp_le_u32_e32 vcc_lo, s54, v22
	v_cndmask_b32_e64 v21, 0, -1, vcc_lo
	v_cmp_le_u32_e32 vcc_lo, s55, v14
	v_cndmask_b32_e64 v22, 0, -1, vcc_lo
	;; [unrolled: 2-line block ×4, first 2 shown]
	v_cmp_eq_u32_e32 vcc_lo, s55, v14
	v_cndmask_b32_e32 v14, v22, v21, vcc_lo
	v_add_co_u32 v21, vcc_lo, v17, 1
	v_add_co_ci_u32_e64 v22, null, 0, v18, vcc_lo
	v_cmp_eq_u32_e32 vcc_lo, s55, v15
	v_xor_b32_e32 v15, s2, v16
	v_cndmask_b32_e32 v3, v23, v3, vcc_lo
	v_cmp_ne_u32_e32 vcc_lo, 0, v14
	v_cmp_ne_u32_e64 s0, 0, v3
	v_cndmask_b32_e32 v3, v21, v19, vcc_lo
	v_cndmask_b32_e32 v14, v22, v20, vcc_lo
	v_cndmask_b32_e64 v3, v17, v3, s0
	v_cndmask_b32_e64 v14, v18, v14, s0
	v_xor_b32_e32 v3, v3, v15
	v_xor_b32_e32 v16, v14, v15
	v_sub_co_u32 v14, vcc_lo, v3, v15
	v_sub_co_ci_u32_e64 v15, null, v16, v15, vcc_lo
.LBB5_18:                               ;   in Loop: Header=BB5_4 Depth=1
	s_andn2_saveexec_b32 s0, s1
	s_cbranch_execz .LBB5_20
; %bb.19:                               ;   in Loop: Header=BB5_4 Depth=1
	v_cvt_f32_u32_e32 v3, s33
	s_sub_i32 s1, 0, s33
	v_rcp_iflag_f32_e32 v3, v3
	v_mul_f32_e32 v3, 0x4f7ffffe, v3
	v_cvt_u32_f32_e32 v3, v3
	v_mul_lo_u32 v14, s1, v3
	v_mul_hi_u32 v14, v3, v14
	v_add_nc_u32_e32 v3, v3, v14
	v_mul_hi_u32 v3, v6, v3
	v_mul_lo_u32 v14, v3, s33
	v_add_nc_u32_e32 v15, 1, v3
	v_sub_nc_u32_e32 v14, v6, v14
	v_subrev_nc_u32_e32 v16, s33, v14
	v_cmp_le_u32_e32 vcc_lo, s33, v14
	v_cndmask_b32_e32 v14, v14, v16, vcc_lo
	v_cndmask_b32_e32 v3, v3, v15, vcc_lo
	v_cmp_le_u32_e32 vcc_lo, s33, v14
	v_add_nc_u32_e32 v15, 1, v3
	v_cndmask_b32_e32 v14, v3, v15, vcc_lo
	v_mov_b32_e32 v15, v2
.LBB5_20:                               ;   in Loop: Header=BB5_4 Depth=1
	s_or_b32 exec_lo, exec_lo, s0
	v_mul_lo_u32 v3, v11, s18
	v_mul_lo_u32 v11, v10, s19
	v_mad_u64_u32 v[16:17], null, v10, s18, 0
	s_mov_b32 s1, exec_lo
	v_add3_u32 v17, v17, v11, v3
	v_sub_co_u32 v3, vcc_lo, v6, v16
	v_sub_co_ci_u32_e64 v10, null, v7, v17, vcc_lo
	v_add_co_u32 v18, vcc_lo, v3, s38
	v_add_co_ci_u32_e64 v19, null, s39, v10, vcc_lo
	v_mov_b32_e32 v10, 0
	v_mov_b32_e32 v11, 0
	v_cmpx_lt_i64_e64 s[24:25], v[18:19]
	s_cbranch_execz .LBB5_26
; %bb.21:                               ;   in Loop: Header=BB5_4 Depth=1
	v_add_co_u32 v20, vcc_lo, v18, s26
	v_add_co_ci_u32_e64 v21, null, s27, v19, vcc_lo
                                        ; implicit-def: $vgpr10_vgpr11
	s_mov_b32 s0, exec_lo
	v_or_b32_e32 v3, s43, v21
	v_cmpx_ne_u64_e32 0, v[2:3]
	s_xor_b32 s53, exec_lo, s0
	s_cbranch_execz .LBB5_23
; %bb.22:                               ;   in Loop: Header=BB5_4 Depth=1
	s_ashr_i32 s2, s43, 31
	v_ashrrev_i32_e32 v24, 31, v21
	s_add_u32 s54, s42, s2
	s_mov_b32 s3, s2
	s_addc_u32 s55, s43, s2
	s_xor_b64 s[54:55], s[54:55], s[2:3]
	v_add_co_u32 v11, vcc_lo, v20, v24
	v_cvt_f32_u32_e32 v3, s54
	v_cvt_f32_u32_e32 v10, s55
	s_sub_u32 s56, 0, s54
	s_subb_u32 s57, 0, s55
	v_add_co_ci_u32_e64 v20, null, v21, v24, vcc_lo
	v_fmac_f32_e32 v3, 0x4f800000, v10
	v_xor_b32_e32 v25, v20, v24
	v_rcp_f32_e32 v3, v3
	v_mul_f32_e32 v3, 0x5f7ffffc, v3
	v_mul_f32_e32 v10, 0x2f800000, v3
	v_trunc_f32_e32 v10, v10
	v_fmac_f32_e32 v3, 0xcf800000, v10
	v_cvt_u32_f32_e32 v10, v10
	v_cvt_u32_f32_e32 v3, v3
	v_readfirstlane_b32 s0, v10
	v_readfirstlane_b32 s3, v3
	s_mul_i32 s61, s56, s0
	v_xor_b32_e32 v3, v11, v24
	s_mul_hi_u32 s63, s56, s3
	s_mul_i32 s62, s57, s3
	s_add_i32 s61, s63, s61
	s_mul_i32 s64, s56, s3
	s_add_i32 s61, s61, s62
	s_mul_hi_u32 s63, s3, s64
	s_mul_i32 s66, s3, s61
	s_mul_hi_u32 s65, s0, s64
	s_mul_i32 s62, s0, s64
	s_mul_hi_u32 s64, s3, s61
	s_add_u32 s63, s63, s66
	s_addc_u32 s64, 0, s64
	s_mul_hi_u32 s67, s0, s61
	s_add_u32 s62, s63, s62
	s_mul_i32 s61, s0, s61
	s_addc_u32 s62, s64, s65
	s_addc_u32 s63, s67, 0
	s_add_u32 s61, s62, s61
	s_addc_u32 s62, 0, s63
	s_add_u32 s3, s3, s61
	s_cselect_b32 s61, -1, 0
	s_mul_hi_u32 s63, s56, s3
	s_cmp_lg_u32 s61, 0
	s_mul_i32 s61, s56, s3
	s_addc_u32 s0, s0, s62
	s_mul_i32 s57, s57, s3
	s_mul_i32 s56, s56, s0
	s_mul_hi_u32 s62, s3, s61
	s_add_i32 s56, s63, s56
	s_mul_hi_u32 s63, s0, s61
	s_add_i32 s56, s56, s57
	s_mul_i32 s57, s0, s61
	s_mul_i32 s65, s3, s56
	s_mul_hi_u32 s64, s3, s56
	s_add_u32 s62, s62, s65
	s_addc_u32 s64, 0, s64
	s_mul_hi_u32 s61, s0, s56
	s_add_u32 s57, s62, s57
	s_mul_i32 s56, s0, s56
	s_addc_u32 s57, s64, s63
	s_addc_u32 s61, s61, 0
	s_add_u32 s56, s57, s56
	s_addc_u32 s57, 0, s61
	s_add_u32 s3, s3, s56
	s_cselect_b32 s56, -1, 0
	v_mul_hi_u32 v26, v3, s3
	s_cmp_lg_u32 s56, 0
	v_mad_u64_u32 v[20:21], null, v25, s3, 0
	s_addc_u32 s0, s0, s57
	v_mad_u64_u32 v[10:11], null, v3, s0, 0
	v_mad_u64_u32 v[22:23], null, v25, s0, 0
	v_add_co_u32 v10, vcc_lo, v26, v10
	v_add_co_ci_u32_e64 v11, null, 0, v11, vcc_lo
	v_add_co_u32 v10, vcc_lo, v10, v20
	v_add_co_ci_u32_e32 v10, vcc_lo, v11, v21, vcc_lo
	v_add_co_ci_u32_e32 v11, vcc_lo, 0, v23, vcc_lo
	v_add_co_u32 v20, vcc_lo, v10, v22
	v_add_co_ci_u32_e64 v21, null, 0, v11, vcc_lo
	v_mul_lo_u32 v22, s55, v20
	v_mad_u64_u32 v[10:11], null, s54, v20, 0
	v_mul_lo_u32 v23, s54, v21
	v_sub_co_u32 v3, vcc_lo, v3, v10
	v_add3_u32 v11, v11, v23, v22
	v_sub_nc_u32_e32 v22, v25, v11
	v_sub_co_ci_u32_e64 v11, null, v25, v11, vcc_lo
	v_subrev_co_ci_u32_e64 v10, null, s55, v22, vcc_lo
	v_add_co_u32 v22, s0, v20, 2
	v_add_co_ci_u32_e64 v23, null, 0, v21, s0
	v_sub_co_u32 v26, s0, v3, s54
	v_subrev_co_ci_u32_e64 v10, null, 0, v10, s0
	v_cmp_le_u32_e32 vcc_lo, s54, v26
	v_cndmask_b32_e64 v25, 0, -1, vcc_lo
	v_cmp_le_u32_e32 vcc_lo, s55, v10
	v_cndmask_b32_e64 v26, 0, -1, vcc_lo
	;; [unrolled: 2-line block ×4, first 2 shown]
	v_cmp_eq_u32_e32 vcc_lo, s55, v10
	v_cndmask_b32_e32 v10, v26, v25, vcc_lo
	v_add_co_u32 v25, vcc_lo, v20, 1
	v_add_co_ci_u32_e64 v26, null, 0, v21, vcc_lo
	v_cmp_eq_u32_e32 vcc_lo, s55, v11
	v_xor_b32_e32 v11, s2, v24
	v_cndmask_b32_e32 v3, v27, v3, vcc_lo
	v_cmp_ne_u32_e32 vcc_lo, 0, v10
	v_cmp_ne_u32_e64 s0, 0, v3
	v_cndmask_b32_e32 v3, v25, v22, vcc_lo
	v_cndmask_b32_e32 v10, v26, v23, vcc_lo
	v_cndmask_b32_e64 v3, v20, v3, s0
	v_cndmask_b32_e64 v10, v21, v10, s0
	v_xor_b32_e32 v3, v3, v11
	v_xor_b32_e32 v20, v10, v11
	v_sub_co_u32 v10, vcc_lo, v3, v11
	v_sub_co_ci_u32_e64 v11, null, v20, v11, vcc_lo
                                        ; implicit-def: $vgpr20
.LBB5_23:                               ;   in Loop: Header=BB5_4 Depth=1
	s_andn2_saveexec_b32 s0, s53
	s_cbranch_execz .LBB5_25
; %bb.24:                               ;   in Loop: Header=BB5_4 Depth=1
	v_cvt_f32_u32_e32 v3, s42
	s_sub_i32 s2, 0, s42
	v_rcp_iflag_f32_e32 v3, v3
	v_mul_f32_e32 v3, 0x4f7ffffe, v3
	v_cvt_u32_f32_e32 v3, v3
	v_mul_lo_u32 v10, s2, v3
	v_mul_hi_u32 v10, v3, v10
	v_add_nc_u32_e32 v3, v3, v10
	v_mul_hi_u32 v3, v20, v3
	v_mul_lo_u32 v10, v3, s42
	v_add_nc_u32_e32 v11, 1, v3
	v_sub_nc_u32_e32 v10, v20, v10
	v_subrev_nc_u32_e32 v20, s42, v10
	v_cmp_le_u32_e32 vcc_lo, s42, v10
	v_cndmask_b32_e32 v10, v10, v20, vcc_lo
	v_cndmask_b32_e32 v3, v3, v11, vcc_lo
	v_cmp_le_u32_e32 vcc_lo, s42, v10
	v_add_nc_u32_e32 v11, 1, v3
	v_cndmask_b32_e32 v10, v3, v11, vcc_lo
	v_mov_b32_e32 v11, v2
.LBB5_25:                               ;   in Loop: Header=BB5_4 Depth=1
	s_or_b32 exec_lo, exec_lo, s0
	v_add_co_u32 v10, vcc_lo, v10, 1
	v_add_co_ci_u32_e64 v11, null, 0, v11, vcc_lo
.LBB5_26:                               ;   in Loop: Header=BB5_4 Depth=1
	s_or_b32 exec_lo, exec_lo, s1
	v_or_b32_e32 v3, s43, v19
                                        ; implicit-def: $vgpr22_vgpr23
	s_mov_b32 s0, exec_lo
	v_cmpx_ne_u64_e32 0, v[2:3]
	s_xor_b32 s1, exec_lo, s0
	s_cbranch_execz .LBB5_28
; %bb.27:                               ;   in Loop: Header=BB5_4 Depth=1
	s_ashr_i32 s2, s43, 31
	v_ashrrev_i32_e32 v24, 31, v19
	s_add_u32 s54, s42, s2
	s_mov_b32 s3, s2
	s_addc_u32 s55, s43, s2
	s_xor_b64 s[54:55], s[54:55], s[2:3]
	v_add_co_u32 v18, vcc_lo, v18, v24
	v_cvt_f32_u32_e32 v3, s54
	v_cvt_f32_u32_e32 v20, s55
	s_sub_u32 s53, 0, s54
	s_subb_u32 s56, 0, s55
	v_add_co_ci_u32_e64 v19, null, v19, v24, vcc_lo
	v_fmac_f32_e32 v3, 0x4f800000, v20
	v_xor_b32_e32 v25, v19, v24
	v_rcp_f32_e32 v3, v3
	v_mul_f32_e32 v3, 0x5f7ffffc, v3
	v_mul_f32_e32 v20, 0x2f800000, v3
	v_trunc_f32_e32 v20, v20
	v_fmac_f32_e32 v3, 0xcf800000, v20
	v_cvt_u32_f32_e32 v20, v20
	v_cvt_u32_f32_e32 v3, v3
	v_readfirstlane_b32 s0, v20
	v_readfirstlane_b32 s3, v3
	s_mul_i32 s57, s53, s0
	v_xor_b32_e32 v3, v18, v24
	s_mul_hi_u32 s62, s53, s3
	s_mul_i32 s61, s56, s3
	s_add_i32 s57, s62, s57
	s_mul_i32 s63, s53, s3
	s_add_i32 s57, s57, s61
	s_mul_hi_u32 s62, s3, s63
	s_mul_i32 s65, s3, s57
	s_mul_hi_u32 s64, s0, s63
	s_mul_i32 s61, s0, s63
	s_mul_hi_u32 s63, s3, s57
	s_add_u32 s62, s62, s65
	s_addc_u32 s63, 0, s63
	s_mul_hi_u32 s66, s0, s57
	s_add_u32 s61, s62, s61
	s_mul_i32 s57, s0, s57
	s_addc_u32 s61, s63, s64
	s_addc_u32 s62, s66, 0
	s_add_u32 s57, s61, s57
	s_addc_u32 s61, 0, s62
	s_add_u32 s3, s3, s57
	s_cselect_b32 s57, -1, 0
	s_mul_hi_u32 s62, s53, s3
	s_cmp_lg_u32 s57, 0
	s_mul_i32 s57, s53, s3
	s_addc_u32 s0, s0, s61
	s_mul_i32 s56, s56, s3
	s_mul_i32 s53, s53, s0
	s_mul_hi_u32 s61, s3, s57
	s_add_i32 s53, s62, s53
	s_mul_hi_u32 s62, s0, s57
	s_add_i32 s53, s53, s56
	s_mul_i32 s56, s0, s57
	s_mul_i32 s64, s3, s53
	s_mul_hi_u32 s63, s3, s53
	s_add_u32 s61, s61, s64
	s_addc_u32 s63, 0, s63
	s_mul_hi_u32 s57, s0, s53
	s_add_u32 s56, s61, s56
	s_mul_i32 s53, s0, s53
	s_addc_u32 s56, s63, s62
	s_addc_u32 s57, s57, 0
	s_add_u32 s53, s56, s53
	s_addc_u32 s56, 0, s57
	s_add_u32 s3, s3, s53
	s_cselect_b32 s53, -1, 0
	v_mul_hi_u32 v26, v3, s3
	s_cmp_lg_u32 s53, 0
	v_mad_u64_u32 v[20:21], null, v25, s3, 0
	s_addc_u32 s0, s0, s56
	v_mad_u64_u32 v[18:19], null, v3, s0, 0
	v_mad_u64_u32 v[22:23], null, v25, s0, 0
	v_add_co_u32 v18, vcc_lo, v26, v18
	v_add_co_ci_u32_e64 v19, null, 0, v19, vcc_lo
	v_add_co_u32 v18, vcc_lo, v18, v20
	v_add_co_ci_u32_e32 v18, vcc_lo, v19, v21, vcc_lo
	v_add_co_ci_u32_e32 v19, vcc_lo, 0, v23, vcc_lo
	v_add_co_u32 v20, vcc_lo, v18, v22
	v_add_co_ci_u32_e64 v21, null, 0, v19, vcc_lo
	v_mul_lo_u32 v22, s55, v20
	v_mad_u64_u32 v[18:19], null, s54, v20, 0
	v_mul_lo_u32 v23, s54, v21
	v_sub_co_u32 v3, vcc_lo, v3, v18
	v_add3_u32 v19, v19, v23, v22
	v_sub_nc_u32_e32 v22, v25, v19
	v_sub_co_ci_u32_e64 v19, null, v25, v19, vcc_lo
	v_subrev_co_ci_u32_e64 v18, null, s55, v22, vcc_lo
	v_add_co_u32 v22, s0, v20, 2
	v_add_co_ci_u32_e64 v23, null, 0, v21, s0
	v_sub_co_u32 v26, s0, v3, s54
	v_subrev_co_ci_u32_e64 v18, null, 0, v18, s0
	v_cmp_le_u32_e32 vcc_lo, s54, v26
	v_cndmask_b32_e64 v25, 0, -1, vcc_lo
	v_cmp_le_u32_e32 vcc_lo, s55, v18
	v_cndmask_b32_e64 v26, 0, -1, vcc_lo
	;; [unrolled: 2-line block ×4, first 2 shown]
	v_cmp_eq_u32_e32 vcc_lo, s55, v18
	v_cndmask_b32_e32 v18, v26, v25, vcc_lo
	v_add_co_u32 v25, vcc_lo, v20, 1
	v_add_co_ci_u32_e64 v26, null, 0, v21, vcc_lo
	v_cmp_eq_u32_e32 vcc_lo, s55, v19
	v_xor_b32_e32 v19, s2, v24
	v_cndmask_b32_e32 v3, v27, v3, vcc_lo
	v_cmp_ne_u32_e32 vcc_lo, 0, v18
	v_cmp_ne_u32_e64 s0, 0, v3
	v_cndmask_b32_e32 v3, v25, v22, vcc_lo
	v_cndmask_b32_e32 v18, v26, v23, vcc_lo
	v_cndmask_b32_e64 v3, v20, v3, s0
	v_cndmask_b32_e64 v18, v21, v18, s0
	v_xor_b32_e32 v3, v3, v19
	v_xor_b32_e32 v18, v18, v19
	v_sub_co_u32 v22, vcc_lo, v3, v19
	v_sub_co_ci_u32_e64 v23, null, v18, v19, vcc_lo
                                        ; implicit-def: $vgpr18
.LBB5_28:                               ;   in Loop: Header=BB5_4 Depth=1
	s_andn2_saveexec_b32 s0, s1
	s_cbranch_execz .LBB5_30
; %bb.29:                               ;   in Loop: Header=BB5_4 Depth=1
	v_cvt_f32_u32_e32 v3, s42
	s_sub_i32 s1, 0, s42
	v_mov_b32_e32 v23, v2
	v_rcp_iflag_f32_e32 v3, v3
	v_mul_f32_e32 v3, 0x4f7ffffe, v3
	v_cvt_u32_f32_e32 v3, v3
	v_mul_lo_u32 v19, s1, v3
	v_mul_hi_u32 v19, v3, v19
	v_add_nc_u32_e32 v3, v3, v19
	v_mul_hi_u32 v3, v18, v3
	v_mul_lo_u32 v19, v3, s42
	v_sub_nc_u32_e32 v18, v18, v19
	v_add_nc_u32_e32 v19, 1, v3
	v_subrev_nc_u32_e32 v20, s42, v18
	v_cmp_le_u32_e32 vcc_lo, s42, v18
	v_cndmask_b32_e32 v18, v18, v20, vcc_lo
	v_cndmask_b32_e32 v3, v3, v19, vcc_lo
	v_cmp_le_u32_e32 vcc_lo, s42, v18
	v_add_nc_u32_e32 v19, 1, v3
	v_cndmask_b32_e32 v22, v3, v19, vcc_lo
.LBB5_30:                               ;   in Loop: Header=BB5_4 Depth=1
	s_or_b32 exec_lo, exec_lo, s0
	v_add_co_u32 v12, vcc_lo, v12, s36
	v_mov_b32_e32 v18, 0
	v_add_co_ci_u32_e64 v13, null, s37, v13, vcc_lo
	v_mov_b32_e32 v19, 0
	s_mov_b32 s1, exec_lo
	v_cmpx_lt_i64_e64 s[30:31], v[12:13]
	s_cbranch_execz .LBB5_36
; %bb.31:                               ;   in Loop: Header=BB5_4 Depth=1
	v_add_co_u32 v20, vcc_lo, v12, s34
	v_add_co_ci_u32_e64 v21, null, s35, v13, vcc_lo
                                        ; implicit-def: $vgpr18_vgpr19
	s_mov_b32 s0, exec_lo
	v_or_b32_e32 v3, s41, v21
	v_cmpx_ne_u64_e32 0, v[2:3]
	s_xor_b32 s53, exec_lo, s0
	s_cbranch_execz .LBB5_33
; %bb.32:                               ;   in Loop: Header=BB5_4 Depth=1
	s_ashr_i32 s2, s41, 31
	v_ashrrev_i32_e32 v26, 31, v21
	s_add_u32 s54, s40, s2
	s_mov_b32 s3, s2
	s_addc_u32 s55, s41, s2
	s_xor_b64 s[54:55], s[54:55], s[2:3]
	v_add_co_u32 v19, vcc_lo, v20, v26
	v_cvt_f32_u32_e32 v3, s54
	v_cvt_f32_u32_e32 v18, s55
	s_sub_u32 s56, 0, s54
	s_subb_u32 s57, 0, s55
	v_add_co_ci_u32_e64 v20, null, v21, v26, vcc_lo
	v_fmac_f32_e32 v3, 0x4f800000, v18
	v_xor_b32_e32 v27, v20, v26
	v_rcp_f32_e32 v3, v3
	v_mul_f32_e32 v3, 0x5f7ffffc, v3
	v_mul_f32_e32 v18, 0x2f800000, v3
	v_trunc_f32_e32 v18, v18
	v_fmac_f32_e32 v3, 0xcf800000, v18
	v_cvt_u32_f32_e32 v18, v18
	v_cvt_u32_f32_e32 v3, v3
	v_readfirstlane_b32 s0, v18
	v_readfirstlane_b32 s3, v3
	s_mul_i32 s61, s56, s0
	v_xor_b32_e32 v3, v19, v26
	s_mul_hi_u32 s63, s56, s3
	s_mul_i32 s62, s57, s3
	s_add_i32 s61, s63, s61
	s_mul_i32 s64, s56, s3
	s_add_i32 s61, s61, s62
	s_mul_hi_u32 s63, s3, s64
	s_mul_i32 s66, s3, s61
	s_mul_hi_u32 s65, s0, s64
	s_mul_i32 s62, s0, s64
	s_mul_hi_u32 s64, s3, s61
	s_add_u32 s63, s63, s66
	s_addc_u32 s64, 0, s64
	s_mul_hi_u32 s67, s0, s61
	s_add_u32 s62, s63, s62
	s_mul_i32 s61, s0, s61
	s_addc_u32 s62, s64, s65
	s_addc_u32 s63, s67, 0
	s_add_u32 s61, s62, s61
	s_addc_u32 s62, 0, s63
	s_add_u32 s3, s3, s61
	s_cselect_b32 s61, -1, 0
	s_mul_hi_u32 s63, s56, s3
	s_cmp_lg_u32 s61, 0
	s_mul_i32 s61, s56, s3
	s_addc_u32 s0, s0, s62
	s_mul_i32 s57, s57, s3
	s_mul_i32 s56, s56, s0
	s_mul_hi_u32 s62, s3, s61
	s_add_i32 s56, s63, s56
	s_mul_hi_u32 s63, s0, s61
	s_add_i32 s56, s56, s57
	s_mul_i32 s57, s0, s61
	s_mul_i32 s65, s3, s56
	s_mul_hi_u32 s64, s3, s56
	s_add_u32 s62, s62, s65
	s_addc_u32 s64, 0, s64
	s_mul_hi_u32 s61, s0, s56
	s_add_u32 s57, s62, s57
	s_mul_i32 s56, s0, s56
	s_addc_u32 s57, s64, s63
	s_addc_u32 s61, s61, 0
	s_add_u32 s56, s57, s56
	s_addc_u32 s57, 0, s61
	s_add_u32 s3, s3, s56
	s_cselect_b32 s56, -1, 0
	v_mul_hi_u32 v28, v3, s3
	s_cmp_lg_u32 s56, 0
	v_mad_u64_u32 v[20:21], null, v27, s3, 0
	s_addc_u32 s0, s0, s57
	v_mad_u64_u32 v[18:19], null, v3, s0, 0
	v_mad_u64_u32 v[24:25], null, v27, s0, 0
	v_add_co_u32 v18, vcc_lo, v28, v18
	v_add_co_ci_u32_e64 v19, null, 0, v19, vcc_lo
	v_add_co_u32 v18, vcc_lo, v18, v20
	v_add_co_ci_u32_e32 v18, vcc_lo, v19, v21, vcc_lo
	v_add_co_ci_u32_e32 v19, vcc_lo, 0, v25, vcc_lo
	v_add_co_u32 v20, vcc_lo, v18, v24
	v_add_co_ci_u32_e64 v21, null, 0, v19, vcc_lo
	v_mul_lo_u32 v24, s55, v20
	v_mad_u64_u32 v[18:19], null, s54, v20, 0
	v_mul_lo_u32 v25, s54, v21
	v_sub_co_u32 v3, vcc_lo, v3, v18
	v_add3_u32 v19, v19, v25, v24
	v_sub_nc_u32_e32 v24, v27, v19
	v_sub_co_ci_u32_e64 v19, null, v27, v19, vcc_lo
	v_subrev_co_ci_u32_e64 v18, null, s55, v24, vcc_lo
	v_add_co_u32 v24, s0, v20, 2
	v_add_co_ci_u32_e64 v25, null, 0, v21, s0
	v_sub_co_u32 v28, s0, v3, s54
	v_subrev_co_ci_u32_e64 v18, null, 0, v18, s0
	v_cmp_le_u32_e32 vcc_lo, s54, v28
	v_cndmask_b32_e64 v27, 0, -1, vcc_lo
	v_cmp_le_u32_e32 vcc_lo, s55, v18
	v_cndmask_b32_e64 v28, 0, -1, vcc_lo
	;; [unrolled: 2-line block ×4, first 2 shown]
	v_cmp_eq_u32_e32 vcc_lo, s55, v18
	v_cndmask_b32_e32 v18, v28, v27, vcc_lo
	v_add_co_u32 v27, vcc_lo, v20, 1
	v_add_co_ci_u32_e64 v28, null, 0, v21, vcc_lo
	v_cmp_eq_u32_e32 vcc_lo, s55, v19
	v_xor_b32_e32 v19, s2, v26
	v_cndmask_b32_e32 v3, v29, v3, vcc_lo
	v_cmp_ne_u32_e32 vcc_lo, 0, v18
	v_cmp_ne_u32_e64 s0, 0, v3
	v_cndmask_b32_e32 v3, v27, v24, vcc_lo
	v_cndmask_b32_e32 v18, v28, v25, vcc_lo
	v_cndmask_b32_e64 v3, v20, v3, s0
	v_cndmask_b32_e64 v18, v21, v18, s0
	v_xor_b32_e32 v3, v3, v19
	v_xor_b32_e32 v20, v18, v19
	v_sub_co_u32 v18, vcc_lo, v3, v19
	v_sub_co_ci_u32_e64 v19, null, v20, v19, vcc_lo
                                        ; implicit-def: $vgpr20
.LBB5_33:                               ;   in Loop: Header=BB5_4 Depth=1
	s_andn2_saveexec_b32 s0, s53
	s_cbranch_execz .LBB5_35
; %bb.34:                               ;   in Loop: Header=BB5_4 Depth=1
	v_cvt_f32_u32_e32 v3, s40
	s_sub_i32 s2, 0, s40
	v_rcp_iflag_f32_e32 v3, v3
	v_mul_f32_e32 v3, 0x4f7ffffe, v3
	v_cvt_u32_f32_e32 v3, v3
	v_mul_lo_u32 v18, s2, v3
	v_mul_hi_u32 v18, v3, v18
	v_add_nc_u32_e32 v3, v3, v18
	v_mul_hi_u32 v3, v20, v3
	v_mul_lo_u32 v18, v3, s40
	v_add_nc_u32_e32 v19, 1, v3
	v_sub_nc_u32_e32 v18, v20, v18
	v_subrev_nc_u32_e32 v20, s40, v18
	v_cmp_le_u32_e32 vcc_lo, s40, v18
	v_cndmask_b32_e32 v18, v18, v20, vcc_lo
	v_cndmask_b32_e32 v3, v3, v19, vcc_lo
	v_cmp_le_u32_e32 vcc_lo, s40, v18
	v_add_nc_u32_e32 v19, 1, v3
	v_cndmask_b32_e32 v18, v3, v19, vcc_lo
	v_mov_b32_e32 v19, v2
.LBB5_35:                               ;   in Loop: Header=BB5_4 Depth=1
	s_or_b32 exec_lo, exec_lo, s0
	v_add_co_u32 v18, vcc_lo, v18, 1
	v_add_co_ci_u32_e64 v19, null, 0, v19, vcc_lo
.LBB5_36:                               ;   in Loop: Header=BB5_4 Depth=1
	s_or_b32 exec_lo, exec_lo, s1
	v_or_b32_e32 v3, s41, v13
                                        ; implicit-def: $vgpr20_vgpr21
	s_mov_b32 s0, exec_lo
	v_cmpx_ne_u64_e32 0, v[2:3]
	s_xor_b32 s1, exec_lo, s0
	s_cbranch_execz .LBB5_38
; %bb.37:                               ;   in Loop: Header=BB5_4 Depth=1
	s_ashr_i32 s2, s41, 31
	v_ashrrev_i32_e32 v28, 31, v13
	s_add_u32 s54, s40, s2
	s_mov_b32 s3, s2
	s_addc_u32 s55, s41, s2
	s_xor_b64 s[54:55], s[54:55], s[2:3]
	v_add_co_u32 v21, vcc_lo, v12, v28
	v_cvt_f32_u32_e32 v3, s54
	v_cvt_f32_u32_e32 v20, s55
	s_sub_u32 s53, 0, s54
	s_subb_u32 s56, 0, s55
	v_add_co_ci_u32_e64 v24, null, v13, v28, vcc_lo
	v_fmac_f32_e32 v3, 0x4f800000, v20
	v_xor_b32_e32 v29, v24, v28
	v_rcp_f32_e32 v3, v3
	v_mul_f32_e32 v3, 0x5f7ffffc, v3
	v_mul_f32_e32 v20, 0x2f800000, v3
	v_trunc_f32_e32 v20, v20
	v_fmac_f32_e32 v3, 0xcf800000, v20
	v_cvt_u32_f32_e32 v20, v20
	v_cvt_u32_f32_e32 v3, v3
	v_readfirstlane_b32 s0, v20
	v_readfirstlane_b32 s3, v3
	s_mul_i32 s57, s53, s0
	v_xor_b32_e32 v3, v21, v28
	s_mul_hi_u32 s62, s53, s3
	s_mul_i32 s61, s56, s3
	s_add_i32 s57, s62, s57
	s_mul_i32 s63, s53, s3
	s_add_i32 s57, s57, s61
	s_mul_hi_u32 s62, s3, s63
	s_mul_i32 s65, s3, s57
	s_mul_hi_u32 s64, s0, s63
	s_mul_i32 s61, s0, s63
	s_mul_hi_u32 s63, s3, s57
	s_add_u32 s62, s62, s65
	s_addc_u32 s63, 0, s63
	s_mul_hi_u32 s66, s0, s57
	s_add_u32 s61, s62, s61
	s_mul_i32 s57, s0, s57
	s_addc_u32 s61, s63, s64
	s_addc_u32 s62, s66, 0
	s_add_u32 s57, s61, s57
	s_addc_u32 s61, 0, s62
	s_add_u32 s3, s3, s57
	s_cselect_b32 s57, -1, 0
	s_mul_hi_u32 s62, s53, s3
	s_cmp_lg_u32 s57, 0
	s_mul_i32 s57, s53, s3
	s_addc_u32 s0, s0, s61
	s_mul_i32 s56, s56, s3
	s_mul_i32 s53, s53, s0
	s_mul_hi_u32 s61, s3, s57
	s_add_i32 s53, s62, s53
	s_mul_hi_u32 s62, s0, s57
	s_add_i32 s53, s53, s56
	s_mul_i32 s56, s0, s57
	s_mul_i32 s64, s3, s53
	s_mul_hi_u32 s63, s3, s53
	s_add_u32 s61, s61, s64
	s_addc_u32 s63, 0, s63
	s_mul_hi_u32 s57, s0, s53
	s_add_u32 s56, s61, s56
	s_mul_i32 s53, s0, s53
	s_addc_u32 s56, s63, s62
	s_addc_u32 s57, s57, 0
	s_add_u32 s53, s56, s53
	s_addc_u32 s56, 0, s57
	s_add_u32 s3, s3, s53
	s_cselect_b32 s53, -1, 0
	v_mul_hi_u32 v30, v3, s3
	s_cmp_lg_u32 s53, 0
	v_mad_u64_u32 v[24:25], null, v29, s3, 0
	s_addc_u32 s0, s0, s56
	v_mad_u64_u32 v[20:21], null, v3, s0, 0
	v_mad_u64_u32 v[26:27], null, v29, s0, 0
	v_add_co_u32 v20, vcc_lo, v30, v20
	v_add_co_ci_u32_e64 v21, null, 0, v21, vcc_lo
	v_add_co_u32 v20, vcc_lo, v20, v24
	v_add_co_ci_u32_e32 v20, vcc_lo, v21, v25, vcc_lo
	v_add_co_ci_u32_e32 v21, vcc_lo, 0, v27, vcc_lo
	v_add_co_u32 v24, vcc_lo, v20, v26
	v_add_co_ci_u32_e64 v25, null, 0, v21, vcc_lo
	v_mul_lo_u32 v26, s55, v24
	v_mad_u64_u32 v[20:21], null, s54, v24, 0
	v_mul_lo_u32 v27, s54, v25
	v_sub_co_u32 v3, vcc_lo, v3, v20
	v_add3_u32 v21, v21, v27, v26
	v_sub_nc_u32_e32 v26, v29, v21
	v_sub_co_ci_u32_e64 v21, null, v29, v21, vcc_lo
	v_subrev_co_ci_u32_e64 v20, null, s55, v26, vcc_lo
	v_add_co_u32 v26, s0, v24, 2
	v_add_co_ci_u32_e64 v27, null, 0, v25, s0
	v_sub_co_u32 v30, s0, v3, s54
	v_subrev_co_ci_u32_e64 v20, null, 0, v20, s0
	v_cmp_le_u32_e32 vcc_lo, s54, v30
	v_cndmask_b32_e64 v29, 0, -1, vcc_lo
	v_cmp_le_u32_e32 vcc_lo, s55, v20
	v_cndmask_b32_e64 v30, 0, -1, vcc_lo
	;; [unrolled: 2-line block ×4, first 2 shown]
	v_cmp_eq_u32_e32 vcc_lo, s55, v20
	v_cndmask_b32_e32 v20, v30, v29, vcc_lo
	v_add_co_u32 v29, vcc_lo, v24, 1
	v_add_co_ci_u32_e64 v30, null, 0, v25, vcc_lo
	v_cmp_eq_u32_e32 vcc_lo, s55, v21
	v_xor_b32_e32 v21, s2, v28
	v_cndmask_b32_e32 v3, v31, v3, vcc_lo
	v_cmp_ne_u32_e32 vcc_lo, 0, v20
	v_cmp_ne_u32_e64 s0, 0, v3
	v_cndmask_b32_e32 v3, v29, v26, vcc_lo
	v_cndmask_b32_e32 v20, v30, v27, vcc_lo
	v_cndmask_b32_e64 v3, v24, v3, s0
	v_cndmask_b32_e64 v20, v25, v20, s0
	v_xor_b32_e32 v3, v3, v21
	v_xor_b32_e32 v24, v20, v21
	v_sub_co_u32 v20, vcc_lo, v3, v21
	v_sub_co_ci_u32_e64 v21, null, v24, v21, vcc_lo
.LBB5_38:                               ;   in Loop: Header=BB5_4 Depth=1
	s_andn2_saveexec_b32 s0, s1
	s_cbranch_execz .LBB5_40
; %bb.39:                               ;   in Loop: Header=BB5_4 Depth=1
	v_cvt_f32_u32_e32 v3, s40
	s_sub_i32 s1, 0, s40
	v_rcp_iflag_f32_e32 v3, v3
	v_mul_f32_e32 v3, 0x4f7ffffe, v3
	v_cvt_u32_f32_e32 v3, v3
	v_mul_lo_u32 v20, s1, v3
	v_mul_hi_u32 v20, v3, v20
	v_add_nc_u32_e32 v3, v3, v20
	v_mul_hi_u32 v3, v12, v3
	v_mul_lo_u32 v20, v3, s40
	v_add_nc_u32_e32 v21, 1, v3
	v_sub_nc_u32_e32 v20, v12, v20
	v_subrev_nc_u32_e32 v24, s40, v20
	v_cmp_le_u32_e32 vcc_lo, s40, v20
	v_cndmask_b32_e32 v20, v20, v24, vcc_lo
	v_cndmask_b32_e32 v3, v3, v21, vcc_lo
	v_cmp_le_u32_e32 vcc_lo, s40, v20
	v_add_nc_u32_e32 v21, 1, v3
	v_cndmask_b32_e32 v20, v3, v21, vcc_lo
	v_mov_b32_e32 v21, v2
.LBB5_40:                               ;   in Loop: Header=BB5_4 Depth=1
	s_or_b32 exec_lo, exec_lo, s0
	v_add_co_u32 v20, vcc_lo, v20, 1
	v_add_co_ci_u32_e64 v21, null, 0, v21, vcc_lo
	v_mov_b32_e32 v35, 0
	s_mov_b32 s53, exec_lo
	v_cmp_gt_i64_e32 vcc_lo, s[48:49], v[20:21]
	v_cndmask_b32_e32 v21, s49, v21, vcc_lo
	v_cndmask_b32_e32 v20, s48, v20, vcc_lo
	v_cmpx_lt_i64_e64 v[18:19], v[20:21]
	s_cbranch_execz .LBB5_3
; %bb.41:                               ;   in Loop: Header=BB5_4 Depth=1
	v_add_co_u32 v22, vcc_lo, v22, 1
	v_add_co_ci_u32_e64 v23, null, 0, v23, vcc_lo
	v_mul_lo_u32 v30, s43, v10
	v_mul_lo_u32 v31, s42, v11
	v_mad_u64_u32 v[26:27], null, s42, v10, 0
	v_cmp_gt_i64_e32 vcc_lo, s[50:51], v[22:23]
	v_lshlrev_b64 v[24:25], 1, v[10:11]
	v_mul_lo_u32 v3, v15, s20
	v_mul_lo_u32 v28, v14, s21
	v_mad_u64_u32 v[14:15], null, v14, s20, 0
	v_cndmask_b32_e32 v23, s51, v23, vcc_lo
	v_cndmask_b32_e32 v22, s50, v22, vcc_lo
	v_add_co_u32 v33, vcc_lo, s38, v0
	v_mul_lo_u32 v29, s12, v5
	v_mul_lo_u32 v32, s13, v4
	v_mad_u64_u32 v[24:25], null, s12, v4, v[24:25]
	v_add_co_ci_u32_e64 v35, null, s39, v1, vcc_lo
	v_add3_u32 v27, v27, v31, v30
	v_add3_u32 v15, v15, v28, v3
	v_sub_co_u32 v3, vcc_lo, v33, v26
	v_add3_u32 v25, v32, v25, v29
	v_sub_co_ci_u32_e64 v26, null, v35, v27, vcc_lo
	v_sub_co_u32 v3, vcc_lo, v3, v16
	v_cmp_lt_i64_e64 s0, v[10:11], v[22:23]
	v_sub_co_ci_u32_e64 v26, null, v26, v17, vcc_lo
	v_add_co_u32 v16, vcc_lo, s10, v24
	v_add_co_ci_u32_e64 v17, null, s11, v25, vcc_lo
	v_sub_co_u32 v8, vcc_lo, v3, v8
	v_sub_co_ci_u32_e64 v9, null, v26, v9, vcc_lo
	v_mov_b32_e32 v35, 0
	s_mov_b32 s61, 0
	s_branch .LBB5_44
.LBB5_42:                               ;   in Loop: Header=BB5_44 Depth=2
	s_or_b32 exec_lo, exec_lo, s3
.LBB5_43:                               ;   in Loop: Header=BB5_44 Depth=2
	s_or_b32 exec_lo, exec_lo, s62
	v_add_co_u32 v18, vcc_lo, v18, 1
	v_add_co_ci_u32_e64 v19, null, 0, v19, vcc_lo
	v_cmp_ge_i64_e32 vcc_lo, v[18:19], v[20:21]
	s_or_b32 s61, vcc_lo, s61
	s_andn2_b32 exec_lo, exec_lo, s61
	s_cbranch_execz .LBB5_2
.LBB5_44:                               ;   Parent Loop BB5_4 Depth=1
                                        ; =>  This Loop Header: Depth=2
                                        ;       Child Loop BB5_52 Depth 3
	s_and_saveexec_b32 s62, s0
	s_cbranch_execz .LBB5_43
; %bb.45:                               ;   in Loop: Header=BB5_44 Depth=2
	v_mul_lo_u32 v3, v19, s40
	v_mul_lo_u32 v26, v18, s41
	v_mad_u64_u32 v[24:25], null, v18, s40, 0
	s_mov_b32 s1, exec_lo
	v_add3_u32 v3, v25, v26, v3
	v_sub_co_u32 v26, vcc_lo, v12, v24
                                        ; implicit-def: $vgpr24_vgpr25
	v_sub_co_ci_u32_e64 v27, null, v13, v3, vcc_lo
	v_or_b32_e32 v3, s45, v27
	v_cmpx_ne_u64_e32 0, v[2:3]
	s_xor_b32 s56, exec_lo, s1
	s_cbranch_execz .LBB5_47
; %bb.46:                               ;   in Loop: Header=BB5_44 Depth=2
	s_ashr_i32 s2, s45, 31
	v_ashrrev_i32_e32 v32, 31, v27
	s_add_u32 s54, s44, s2
	s_mov_b32 s3, s2
	s_addc_u32 s55, s45, s2
	s_xor_b64 s[54:55], s[54:55], s[2:3]
	v_add_co_u32 v25, vcc_lo, v26, v32
	v_cvt_f32_u32_e32 v3, s54
	v_cvt_f32_u32_e32 v24, s55
	s_sub_u32 s57, 0, s54
	s_subb_u32 s63, 0, s55
	v_add_co_ci_u32_e64 v28, null, v27, v32, vcc_lo
	v_fmac_f32_e32 v3, 0x4f800000, v24
	v_xor_b32_e32 v33, v28, v32
	v_rcp_f32_e32 v3, v3
	v_mul_f32_e32 v3, 0x5f7ffffc, v3
	v_mul_f32_e32 v24, 0x2f800000, v3
	v_trunc_f32_e32 v24, v24
	v_fmac_f32_e32 v3, 0xcf800000, v24
	v_cvt_u32_f32_e32 v24, v24
	v_cvt_u32_f32_e32 v3, v3
	v_readfirstlane_b32 s1, v24
	v_readfirstlane_b32 s3, v3
	s_mul_i32 s64, s57, s1
	v_xor_b32_e32 v3, v25, v32
	s_mul_hi_u32 s66, s57, s3
	s_mul_i32 s65, s63, s3
	s_add_i32 s64, s66, s64
	s_mul_i32 s67, s57, s3
	s_add_i32 s64, s64, s65
	s_mul_hi_u32 s66, s3, s67
	s_mul_i32 s69, s3, s64
	s_mul_hi_u32 s68, s1, s67
	s_mul_i32 s65, s1, s67
	s_mul_hi_u32 s67, s3, s64
	s_add_u32 s66, s66, s69
	s_addc_u32 s67, 0, s67
	s_mul_hi_u32 s70, s1, s64
	s_add_u32 s65, s66, s65
	s_mul_i32 s64, s1, s64
	s_addc_u32 s65, s67, s68
	s_addc_u32 s66, s70, 0
	s_add_u32 s64, s65, s64
	s_addc_u32 s65, 0, s66
	s_add_u32 s3, s3, s64
	s_cselect_b32 s64, -1, 0
	s_mul_hi_u32 s66, s57, s3
	s_cmp_lg_u32 s64, 0
	s_mul_i32 s64, s57, s3
	s_addc_u32 s1, s1, s65
	s_mul_i32 s63, s63, s3
	s_mul_i32 s57, s57, s1
	s_mul_hi_u32 s65, s3, s64
	s_add_i32 s57, s66, s57
	s_mul_hi_u32 s66, s1, s64
	s_add_i32 s57, s57, s63
	s_mul_i32 s63, s1, s64
	s_mul_i32 s68, s3, s57
	s_mul_hi_u32 s67, s3, s57
	s_add_u32 s65, s65, s68
	s_addc_u32 s67, 0, s67
	s_mul_hi_u32 s64, s1, s57
	s_add_u32 s63, s65, s63
	s_mul_i32 s57, s1, s57
	s_addc_u32 s63, s67, s66
	s_addc_u32 s64, s64, 0
	s_add_u32 s57, s63, s57
	s_addc_u32 s63, 0, s64
	s_add_u32 s3, s3, s57
	s_cselect_b32 s57, -1, 0
	v_mul_hi_u32 v36, v3, s3
	s_cmp_lg_u32 s57, 0
	v_mad_u64_u32 v[28:29], null, v33, s3, 0
	s_addc_u32 s1, s1, s63
	v_mad_u64_u32 v[24:25], null, v3, s1, 0
	v_mad_u64_u32 v[30:31], null, v33, s1, 0
	v_add_co_u32 v24, vcc_lo, v36, v24
	v_add_co_ci_u32_e64 v25, null, 0, v25, vcc_lo
	v_add_co_u32 v24, vcc_lo, v24, v28
	v_add_co_ci_u32_e32 v24, vcc_lo, v25, v29, vcc_lo
	v_add_co_ci_u32_e32 v25, vcc_lo, 0, v31, vcc_lo
	v_add_co_u32 v28, vcc_lo, v24, v30
	v_add_co_ci_u32_e64 v29, null, 0, v25, vcc_lo
	v_mul_lo_u32 v30, s55, v28
	v_mad_u64_u32 v[24:25], null, s54, v28, 0
	v_mul_lo_u32 v31, s54, v29
	v_sub_co_u32 v3, vcc_lo, v3, v24
	v_add3_u32 v25, v25, v31, v30
	v_sub_nc_u32_e32 v30, v33, v25
	v_sub_co_ci_u32_e64 v25, null, v33, v25, vcc_lo
	v_subrev_co_ci_u32_e64 v24, null, s55, v30, vcc_lo
	v_add_co_u32 v30, s1, v28, 2
	v_add_co_ci_u32_e64 v31, null, 0, v29, s1
	v_sub_co_u32 v36, s1, v3, s54
	v_subrev_co_ci_u32_e64 v24, null, 0, v24, s1
	v_cmp_le_u32_e32 vcc_lo, s54, v36
	v_cndmask_b32_e64 v33, 0, -1, vcc_lo
	v_cmp_le_u32_e32 vcc_lo, s55, v24
	v_cndmask_b32_e64 v36, 0, -1, vcc_lo
	;; [unrolled: 2-line block ×4, first 2 shown]
	v_cmp_eq_u32_e32 vcc_lo, s55, v24
	v_cndmask_b32_e32 v24, v36, v33, vcc_lo
	v_add_co_u32 v33, vcc_lo, v28, 1
	v_add_co_ci_u32_e64 v36, null, 0, v29, vcc_lo
	v_cmp_eq_u32_e32 vcc_lo, s55, v25
	v_xor_b32_e32 v25, s2, v32
	v_cndmask_b32_e32 v3, v37, v3, vcc_lo
	v_cmp_ne_u32_e32 vcc_lo, 0, v24
	v_cmp_ne_u32_e64 s1, 0, v3
	v_cndmask_b32_e32 v3, v33, v30, vcc_lo
	v_cndmask_b32_e32 v24, v36, v31, vcc_lo
	v_cndmask_b32_e64 v3, v28, v3, s1
	v_cndmask_b32_e64 v24, v29, v24, s1
	v_xor_b32_e32 v3, v3, v25
	v_xor_b32_e32 v28, v24, v25
	v_sub_co_u32 v24, vcc_lo, v3, v25
	v_sub_co_ci_u32_e64 v25, null, v28, v25, vcc_lo
.LBB5_47:                               ;   in Loop: Header=BB5_44 Depth=2
	s_andn2_saveexec_b32 s1, s56
	s_cbranch_execz .LBB5_49
; %bb.48:                               ;   in Loop: Header=BB5_44 Depth=2
	v_cvt_f32_u32_e32 v3, s44
	s_sub_i32 s2, 0, s44
	v_rcp_iflag_f32_e32 v3, v3
	v_mul_f32_e32 v3, 0x4f7ffffe, v3
	v_cvt_u32_f32_e32 v3, v3
	v_mul_lo_u32 v24, s2, v3
	v_mul_hi_u32 v24, v3, v24
	v_add_nc_u32_e32 v3, v3, v24
	v_mul_hi_u32 v3, v26, v3
	v_mul_lo_u32 v24, v3, s44
	v_add_nc_u32_e32 v25, 1, v3
	v_sub_nc_u32_e32 v24, v26, v24
	v_subrev_nc_u32_e32 v28, s44, v24
	v_cmp_le_u32_e32 vcc_lo, s44, v24
	v_cndmask_b32_e32 v24, v24, v28, vcc_lo
	v_cndmask_b32_e32 v3, v3, v25, vcc_lo
	v_cmp_le_u32_e32 vcc_lo, s44, v24
	v_add_nc_u32_e32 v25, 1, v3
	v_cndmask_b32_e32 v24, v3, v25, vcc_lo
	v_mov_b32_e32 v25, v2
.LBB5_49:                               ;   in Loop: Header=BB5_44 Depth=2
	s_or_b32 exec_lo, exec_lo, s1
	v_mul_lo_u32 v3, v25, s44
	v_mul_lo_u32 v30, v24, s45
	v_mad_u64_u32 v[28:29], null, v24, s44, 0
	v_add_co_u32 v24, vcc_lo, v24, v14
	v_add_co_ci_u32_e64 v25, null, v25, v15, vcc_lo
	s_mov_b32 s3, 0
	v_add3_u32 v3, v29, v30, v3
	v_mul_lo_u32 v29, v25, s22
	v_mul_lo_u32 v30, v24, s23
	v_mad_u64_u32 v[24:25], null, v24, s22, 0
	v_sub_co_u32 v26, vcc_lo, v26, v28
	v_sub_co_ci_u32_e64 v27, null, v27, v3, vcc_lo
	v_add3_u32 v25, v25, v30, v29
	v_cmp_eq_u64_e64 s1, 0, v[26:27]
	v_mov_b32_e32 v27, v9
	v_mov_b32_e32 v29, v17
	;; [unrolled: 1-line block ×6, first 2 shown]
	s_branch .LBB5_52
.LBB5_50:                               ;   in Loop: Header=BB5_52 Depth=3
	s_or_b32 exec_lo, exec_lo, s2
.LBB5_51:                               ;   in Loop: Header=BB5_52 Depth=3
	s_or_b32 exec_lo, exec_lo, s63
	v_add_co_u32 v30, vcc_lo, v30, 1
	v_add_co_ci_u32_e64 v31, null, 0, v31, vcc_lo
	v_add_co_u32 v28, vcc_lo, v28, 2
	v_add_co_ci_u32_e64 v29, null, 0, v29, vcc_lo
	v_cmp_ge_i64_e32 vcc_lo, v[30:31], v[22:23]
	v_sub_co_u32 v26, s2, v26, s42
	v_subrev_co_ci_u32_e64 v27, null, s43, v27, s2
	s_or_b32 s3, vcc_lo, s3
	s_andn2_b32 exec_lo, exec_lo, s3
	s_cbranch_execz .LBB5_42
.LBB5_52:                               ;   Parent Loop BB5_4 Depth=1
                                        ;     Parent Loop BB5_44 Depth=2
                                        ; =>    This Inner Loop Header: Depth=3
	s_and_saveexec_b32 s63, s1
	s_cbranch_execz .LBB5_51
; %bb.53:                               ;   in Loop: Header=BB5_52 Depth=3
	v_or_b32_e32 v3, s47, v27
                                        ; implicit-def: $vgpr32_vgpr33
	s_mov_b32 s2, exec_lo
	v_cmpx_ne_u64_e32 0, v[2:3]
	s_xor_b32 s64, exec_lo, s2
	s_cbranch_execz .LBB5_55
; %bb.54:                               ;   in Loop: Header=BB5_52 Depth=3
	s_ashr_i32 s54, s47, 31
	v_ashrrev_i32_e32 v40, 31, v27
	s_add_u32 s56, s46, s54
	s_mov_b32 s55, s54
	s_addc_u32 s57, s47, s54
	s_xor_b64 s[56:57], s[56:57], s[54:55]
	v_add_co_u32 v33, vcc_lo, v26, v40
	v_cvt_f32_u32_e32 v3, s56
	v_cvt_f32_u32_e32 v32, s57
	s_sub_u32 s65, 0, s56
	s_subb_u32 s66, 0, s57
	v_add_co_ci_u32_e64 v36, null, v27, v40, vcc_lo
	v_fmac_f32_e32 v3, 0x4f800000, v32
	v_xor_b32_e32 v41, v36, v40
	v_rcp_f32_e32 v3, v3
	v_mul_f32_e32 v3, 0x5f7ffffc, v3
	v_mul_f32_e32 v32, 0x2f800000, v3
	v_trunc_f32_e32 v32, v32
	v_fmac_f32_e32 v3, 0xcf800000, v32
	v_cvt_u32_f32_e32 v32, v32
	v_cvt_u32_f32_e32 v3, v3
	v_readfirstlane_b32 s2, v32
	v_readfirstlane_b32 s55, v3
	s_mul_i32 s67, s65, s2
	v_xor_b32_e32 v3, v33, v40
	s_mul_hi_u32 s69, s65, s55
	s_mul_i32 s68, s66, s55
	s_add_i32 s67, s69, s67
	s_mul_i32 s70, s65, s55
	s_add_i32 s67, s67, s68
	s_mul_hi_u32 s69, s55, s70
	s_mul_i32 s72, s55, s67
	s_mul_hi_u32 s71, s2, s70
	s_mul_i32 s68, s2, s70
	s_mul_hi_u32 s70, s55, s67
	s_add_u32 s69, s69, s72
	s_addc_u32 s70, 0, s70
	s_mul_hi_u32 s73, s2, s67
	s_add_u32 s68, s69, s68
	s_mul_i32 s67, s2, s67
	s_addc_u32 s68, s70, s71
	s_addc_u32 s69, s73, 0
	s_add_u32 s67, s68, s67
	s_addc_u32 s68, 0, s69
	s_add_u32 s55, s55, s67
	s_cselect_b32 s67, -1, 0
	s_mul_hi_u32 s69, s65, s55
	s_cmp_lg_u32 s67, 0
	s_mul_i32 s67, s65, s55
	s_addc_u32 s2, s2, s68
	s_mul_i32 s66, s66, s55
	s_mul_i32 s65, s65, s2
	s_mul_hi_u32 s68, s55, s67
	s_add_i32 s65, s69, s65
	s_mul_hi_u32 s69, s2, s67
	s_add_i32 s65, s65, s66
	s_mul_i32 s66, s2, s67
	s_mul_i32 s71, s55, s65
	s_mul_hi_u32 s70, s55, s65
	s_add_u32 s68, s68, s71
	s_addc_u32 s70, 0, s70
	s_mul_hi_u32 s67, s2, s65
	s_add_u32 s66, s68, s66
	s_mul_i32 s65, s2, s65
	s_addc_u32 s66, s70, s69
	s_addc_u32 s67, s67, 0
	s_add_u32 s65, s66, s65
	s_addc_u32 s66, 0, s67
	s_add_u32 s55, s55, s65
	s_cselect_b32 s65, -1, 0
	v_mul_hi_u32 v42, v3, s55
	s_cmp_lg_u32 s65, 0
	v_mad_u64_u32 v[36:37], null, v41, s55, 0
	s_addc_u32 s2, s2, s66
	v_mad_u64_u32 v[32:33], null, v3, s2, 0
	v_mad_u64_u32 v[38:39], null, v41, s2, 0
	v_add_co_u32 v32, vcc_lo, v42, v32
	v_add_co_ci_u32_e64 v33, null, 0, v33, vcc_lo
	v_add_co_u32 v32, vcc_lo, v32, v36
	v_add_co_ci_u32_e32 v32, vcc_lo, v33, v37, vcc_lo
	v_add_co_ci_u32_e32 v33, vcc_lo, 0, v39, vcc_lo
	v_add_co_u32 v36, vcc_lo, v32, v38
	v_add_co_ci_u32_e64 v37, null, 0, v33, vcc_lo
	v_mul_lo_u32 v38, s57, v36
	v_mad_u64_u32 v[32:33], null, s56, v36, 0
	v_mul_lo_u32 v39, s56, v37
	v_sub_co_u32 v3, vcc_lo, v3, v32
	v_add3_u32 v33, v33, v39, v38
	v_sub_nc_u32_e32 v38, v41, v33
	v_sub_co_ci_u32_e64 v33, null, v41, v33, vcc_lo
	v_subrev_co_ci_u32_e64 v32, null, s57, v38, vcc_lo
	v_add_co_u32 v38, s2, v36, 2
	v_add_co_ci_u32_e64 v39, null, 0, v37, s2
	v_sub_co_u32 v42, s2, v3, s56
	v_subrev_co_ci_u32_e64 v32, null, 0, v32, s2
	v_cmp_le_u32_e32 vcc_lo, s56, v42
	v_cndmask_b32_e64 v41, 0, -1, vcc_lo
	v_cmp_le_u32_e32 vcc_lo, s57, v32
	v_cndmask_b32_e64 v42, 0, -1, vcc_lo
	v_cmp_le_u32_e32 vcc_lo, s56, v3
	v_cndmask_b32_e64 v3, 0, -1, vcc_lo
	v_cmp_le_u32_e32 vcc_lo, s57, v33
	v_cndmask_b32_e64 v43, 0, -1, vcc_lo
	v_cmp_eq_u32_e32 vcc_lo, s57, v32
	v_cndmask_b32_e32 v32, v42, v41, vcc_lo
	v_add_co_u32 v41, vcc_lo, v36, 1
	v_add_co_ci_u32_e64 v42, null, 0, v37, vcc_lo
	v_cmp_eq_u32_e32 vcc_lo, s57, v33
	v_xor_b32_e32 v33, s54, v40
	v_cndmask_b32_e32 v3, v43, v3, vcc_lo
	v_cmp_ne_u32_e32 vcc_lo, 0, v32
	v_cmp_ne_u32_e64 s2, 0, v3
	v_cndmask_b32_e32 v3, v41, v38, vcc_lo
	v_cndmask_b32_e32 v32, v42, v39, vcc_lo
	v_cndmask_b32_e64 v3, v36, v3, s2
	v_cndmask_b32_e64 v32, v37, v32, s2
	v_xor_b32_e32 v3, v3, v33
	v_xor_b32_e32 v36, v32, v33
	v_sub_co_u32 v32, vcc_lo, v3, v33
	v_sub_co_ci_u32_e64 v33, null, v36, v33, vcc_lo
.LBB5_55:                               ;   in Loop: Header=BB5_52 Depth=3
	s_andn2_saveexec_b32 s2, s64
	s_cbranch_execz .LBB5_57
; %bb.56:                               ;   in Loop: Header=BB5_52 Depth=3
	v_cvt_f32_u32_e32 v3, s46
	s_sub_i32 s54, 0, s46
	v_rcp_iflag_f32_e32 v3, v3
	v_mul_f32_e32 v3, 0x4f7ffffe, v3
	v_cvt_u32_f32_e32 v3, v3
	v_mul_lo_u32 v32, s54, v3
	v_mul_hi_u32 v32, v3, v32
	v_add_nc_u32_e32 v3, v3, v32
	v_mul_hi_u32 v3, v26, v3
	v_mul_lo_u32 v32, v3, s46
	v_add_nc_u32_e32 v33, 1, v3
	v_sub_nc_u32_e32 v32, v26, v32
	v_subrev_nc_u32_e32 v36, s46, v32
	v_cmp_le_u32_e32 vcc_lo, s46, v32
	v_cndmask_b32_e32 v32, v32, v36, vcc_lo
	v_cndmask_b32_e32 v3, v3, v33, vcc_lo
	v_cmp_le_u32_e32 vcc_lo, s46, v32
	v_add_nc_u32_e32 v33, 1, v3
	v_cndmask_b32_e32 v32, v3, v33, vcc_lo
	v_mov_b32_e32 v33, v2
.LBB5_57:                               ;   in Loop: Header=BB5_52 Depth=3
	s_or_b32 exec_lo, exec_lo, s2
	v_mul_lo_u32 v3, v33, s46
	v_mul_lo_u32 v38, v32, s47
	v_mad_u64_u32 v[36:37], null, v32, s46, 0
	s_mov_b32 s2, exec_lo
	v_add3_u32 v3, v37, v38, v3
	v_sub_co_u32 v36, vcc_lo, v26, v36
	v_sub_co_ci_u32_e64 v37, null, v27, v3, vcc_lo
	v_cmpx_eq_u64_e32 0, v[36:37]
	s_cbranch_execz .LBB5_50
; %bb.58:                               ;   in Loop: Header=BB5_52 Depth=3
	v_add_co_u32 v3, vcc_lo, v24, v32
	v_add_co_ci_u32_e64 v32, null, v25, v33, vcc_lo
	v_mul_lo_u32 v36, v3, s49
	v_mul_lo_u32 v37, v32, s48
	v_mad_u64_u32 v[32:33], null, v3, s48, v[18:19]
	v_add3_u32 v3, v37, v33, v36
	v_mul_lo_u32 v36, s29, v32
	v_mad_u64_u32 v[32:33], null, s28, v32, v[28:29]
	v_mul_lo_u32 v3, s28, v3
	v_add3_u32 v33, v36, v33, v3
	global_load_ushort v3, v[32:33], off
	s_waitcnt vmcnt(0)
	v_lshlrev_b32_e32 v3, 16, v3
	v_add_f32_e32 v35, v35, v3
	s_branch .LBB5_50
.LBB5_59:
	s_endpgm
	.section	.rodata,"a",@progbits
	.p2align	6, 0x0
	.amdhsa_kernel _ZN2at6native21col2im_batched_kernelIN3c108BFloat16EEEvlPKT_llllllllllllllPS4_l
		.amdhsa_group_segment_fixed_size 0
		.amdhsa_private_segment_fixed_size 0
		.amdhsa_kernarg_size 400
		.amdhsa_user_sgpr_count 6
		.amdhsa_user_sgpr_private_segment_buffer 1
		.amdhsa_user_sgpr_dispatch_ptr 0
		.amdhsa_user_sgpr_queue_ptr 0
		.amdhsa_user_sgpr_kernarg_segment_ptr 1
		.amdhsa_user_sgpr_dispatch_id 0
		.amdhsa_user_sgpr_flat_scratch_init 0
		.amdhsa_user_sgpr_private_segment_size 0
		.amdhsa_wavefront_size32 1
		.amdhsa_uses_dynamic_stack 0
		.amdhsa_system_sgpr_private_segment_wavefront_offset 0
		.amdhsa_system_sgpr_workgroup_id_x 1
		.amdhsa_system_sgpr_workgroup_id_y 0
		.amdhsa_system_sgpr_workgroup_id_z 0
		.amdhsa_system_sgpr_workgroup_info 0
		.amdhsa_system_vgpr_workitem_id 0
		.amdhsa_next_free_vgpr 44
		.amdhsa_next_free_sgpr 74
		.amdhsa_reserve_vcc 1
		.amdhsa_reserve_flat_scratch 0
		.amdhsa_float_round_mode_32 0
		.amdhsa_float_round_mode_16_64 0
		.amdhsa_float_denorm_mode_32 3
		.amdhsa_float_denorm_mode_16_64 3
		.amdhsa_dx10_clamp 1
		.amdhsa_ieee_mode 1
		.amdhsa_fp16_overflow 0
		.amdhsa_workgroup_processor_mode 1
		.amdhsa_memory_ordered 1
		.amdhsa_forward_progress 1
		.amdhsa_shared_vgpr_count 0
		.amdhsa_exception_fp_ieee_invalid_op 0
		.amdhsa_exception_fp_denorm_src 0
		.amdhsa_exception_fp_ieee_div_zero 0
		.amdhsa_exception_fp_ieee_overflow 0
		.amdhsa_exception_fp_ieee_underflow 0
		.amdhsa_exception_fp_ieee_inexact 0
		.amdhsa_exception_int_div_zero 0
	.end_amdhsa_kernel
	.section	.text._ZN2at6native21col2im_batched_kernelIN3c108BFloat16EEEvlPKT_llllllllllllllPS4_l,"axG",@progbits,_ZN2at6native21col2im_batched_kernelIN3c108BFloat16EEEvlPKT_llllllllllllllPS4_l,comdat
.Lfunc_end5:
	.size	_ZN2at6native21col2im_batched_kernelIN3c108BFloat16EEEvlPKT_llllllllllllllPS4_l, .Lfunc_end5-_ZN2at6native21col2im_batched_kernelIN3c108BFloat16EEEvlPKT_llllllllllllllPS4_l
                                        ; -- End function
	.set _ZN2at6native21col2im_batched_kernelIN3c108BFloat16EEEvlPKT_llllllllllllllPS4_l.num_vgpr, 44
	.set _ZN2at6native21col2im_batched_kernelIN3c108BFloat16EEEvlPKT_llllllllllllllPS4_l.num_agpr, 0
	.set _ZN2at6native21col2im_batched_kernelIN3c108BFloat16EEEvlPKT_llllllllllllllPS4_l.numbered_sgpr, 74
	.set _ZN2at6native21col2im_batched_kernelIN3c108BFloat16EEEvlPKT_llllllllllllllPS4_l.num_named_barrier, 0
	.set _ZN2at6native21col2im_batched_kernelIN3c108BFloat16EEEvlPKT_llllllllllllllPS4_l.private_seg_size, 0
	.set _ZN2at6native21col2im_batched_kernelIN3c108BFloat16EEEvlPKT_llllllllllllllPS4_l.uses_vcc, 1
	.set _ZN2at6native21col2im_batched_kernelIN3c108BFloat16EEEvlPKT_llllllllllllllPS4_l.uses_flat_scratch, 0
	.set _ZN2at6native21col2im_batched_kernelIN3c108BFloat16EEEvlPKT_llllllllllllllPS4_l.has_dyn_sized_stack, 0
	.set _ZN2at6native21col2im_batched_kernelIN3c108BFloat16EEEvlPKT_llllllllllllllPS4_l.has_recursion, 0
	.set _ZN2at6native21col2im_batched_kernelIN3c108BFloat16EEEvlPKT_llllllllllllllPS4_l.has_indirect_call, 0
	.section	.AMDGPU.csdata,"",@progbits
; Kernel info:
; codeLenInByte = 9008
; TotalNumSgprs: 76
; NumVgprs: 44
; ScratchSize: 0
; MemoryBound: 0
; FloatMode: 240
; IeeeMode: 1
; LDSByteSize: 0 bytes/workgroup (compile time only)
; SGPRBlocks: 0
; VGPRBlocks: 5
; NumSGPRsForWavesPerEU: 76
; NumVGPRsForWavesPerEU: 44
; Occupancy: 16
; WaveLimiterHint : 0
; COMPUTE_PGM_RSRC2:SCRATCH_EN: 0
; COMPUTE_PGM_RSRC2:USER_SGPR: 6
; COMPUTE_PGM_RSRC2:TRAP_HANDLER: 0
; COMPUTE_PGM_RSRC2:TGID_X_EN: 1
; COMPUTE_PGM_RSRC2:TGID_Y_EN: 0
; COMPUTE_PGM_RSRC2:TGID_Z_EN: 0
; COMPUTE_PGM_RSRC2:TIDIG_COMP_CNT: 0
	.section	.text._ZN2at6native21col2im_batched_kernelIbEEvlPKT_llllllllllllllPS2_l,"axG",@progbits,_ZN2at6native21col2im_batched_kernelIbEEvlPKT_llllllllllllllPS2_l,comdat
	.protected	_ZN2at6native21col2im_batched_kernelIbEEvlPKT_llllllllllllllPS2_l ; -- Begin function _ZN2at6native21col2im_batched_kernelIbEEvlPKT_llllllllllllllPS2_l
	.globl	_ZN2at6native21col2im_batched_kernelIbEEvlPKT_llllllllllllllPS2_l
	.p2align	8
	.type	_ZN2at6native21col2im_batched_kernelIbEEvlPKT_llllllllllllllPS2_l,@function
_ZN2at6native21col2im_batched_kernelIbEEvlPKT_llllllllllllllPS2_l: ; @_ZN2at6native21col2im_batched_kernelIbEEvlPKT_llllllllllllllPS2_l
; %bb.0:
	s_clause 0x1
	s_load_dwordx16 s[8:23], s[4:5], 0x0
	s_load_dword s2, s[4:5], 0x9c
	v_mov_b32_e32 v2, 0
	v_mov_b32_e32 v1, v2
	s_waitcnt lgkmcnt(0)
	s_mul_i32 s0, s14, s9
	s_mul_hi_u32 s1, s14, s8
	s_mul_i32 s3, s15, s8
	s_add_i32 s0, s1, s0
	s_mul_i32 s14, s14, s8
	s_add_i32 s15, s0, s3
	s_add_u32 s0, s4, 0x90
	s_addc_u32 s1, s5, 0
	s_and_b32 s2, s2, 0xffff
	s_mov_b32 s3, exec_lo
	v_mad_u64_u32 v[0:1], null, s2, s6, v[0:1]
	v_cmpx_gt_i64_e64 s[14:15], v[0:1]
	s_cbranch_execz .LBB6_59
; %bb.1:
	s_load_dwordx16 s[36:51], s[4:5], 0x40
	s_load_dword s0, s[0:1], 0x0
	v_cvt_f32_u32_e32 v3, s8
	s_mul_i32 s1, s18, s17
	s_mul_hi_u32 s3, s18, s16
	s_mul_i32 s24, s19, s16
	s_add_i32 s1, s3, s1
	s_load_dwordx4 s[4:7], s[4:5], 0x80
	v_rcp_iflag_f32_e32 v3, v3
	s_add_i32 s57, s1, s24
	s_add_u32 s1, s22, -1
	s_addc_u32 s3, s23, -1
	s_mul_i32 s33, s18, s16
	s_mov_b32 s56, 0
	v_mul_f32_e32 v3, 0x4f7ffffe, v3
	s_waitcnt lgkmcnt(0)
	s_mul_i32 s3, s46, s3
	s_mul_hi_u32 s25, s46, s1
	s_mul_i32 s26, s47, s1
	s_mul_i32 s58, s0, s2
	s_add_i32 s0, s25, s3
	s_mul_i32 s24, s46, s1
	s_add_i32 s25, s0, s26
	s_add_u32 s0, s20, -1
	s_addc_u32 s1, s21, -1
	s_mul_hi_u32 s2, s44, s0
	s_mul_i32 s1, s44, s1
	s_mul_i32 s3, s45, s0
	s_add_i32 s1, s2, s1
	v_cvt_u32_f32_e32 v30, v3
	s_mul_i32 s26, s44, s0
	s_add_i32 s27, s1, s3
	s_not_b64 s[28:29], s[24:25]
	s_not_b64 s[30:31], s[26:27]
	s_ashr_i32 s34, s9, 31
	s_branch .LBB6_4
.LBB6_2:                                ;   in Loop: Header=BB6_4 Depth=1
	s_or_b32 exec_lo, exec_lo, s59
	s_and_b32 s1, s60, exec_lo
.LBB6_3:                                ;   in Loop: Header=BB6_4 Depth=1
	s_or_b32 exec_lo, exec_lo, s35
	v_mad_u64_u32 v[6:7], null, v4, s6, s[4:5]
	v_mul_lo_u32 v3, v4, s7
	v_mul_lo_u32 v4, v5, s6
	v_add_co_u32 v0, vcc_lo, v0, s58
	v_add_co_ci_u32_e64 v1, null, 0, v1, vcc_lo
	v_cndmask_b32_e64 v5, 0, 1, s1
	v_add3_u32 v4, v4, v7, v3
	v_cmp_le_i64_e32 vcc_lo, s[14:15], v[0:1]
	v_add_co_u32 v3, s0, v6, v31
	v_add_co_ci_u32_e64 v4, null, v4, v32, s0
	s_or_b32 s56, vcc_lo, s56
	global_store_byte v[3:4], v5, off
	s_andn2_b32 exec_lo, exec_lo, s56
	s_cbranch_execz .LBB6_59
.LBB6_4:                                ; =>This Loop Header: Depth=1
                                        ;     Child Loop BB6_44 Depth 2
                                        ;       Child Loop BB6_52 Depth 3
	v_or_b32_e32 v3, s9, v1
                                        ; implicit-def: $vgpr4_vgpr5
	s_mov_b32 s0, exec_lo
	v_cmpx_ne_u64_e32 0, v[2:3]
	s_xor_b32 s1, exec_lo, s0
	s_cbranch_execz .LBB6_6
; %bb.5:                                ;   in Loop: Header=BB6_4 Depth=1
	s_add_u32 s2, s8, s34
	s_mov_b32 s35, s34
	s_addc_u32 s3, s9, s34
	v_ashrrev_i32_e32 v9, 31, v1
	s_xor_b64 s[2:3], s[2:3], s[34:35]
	v_cvt_f32_u32_e32 v3, s2
	v_cvt_f32_u32_e32 v4, s3
	s_sub_u32 s0, 0, s2
	s_subb_u32 s53, 0, s3
	v_add_co_u32 v5, vcc_lo, v0, v9
	v_fmac_f32_e32 v3, 0x4f800000, v4
	v_xor_b32_e32 v10, v5, v9
	v_rcp_f32_e32 v3, v3
	v_mul_f32_e32 v3, 0x5f7ffffc, v3
	v_mul_f32_e32 v4, 0x2f800000, v3
	v_trunc_f32_e32 v4, v4
	v_fmac_f32_e32 v3, 0xcf800000, v4
	v_cvt_u32_f32_e32 v4, v4
	v_cvt_u32_f32_e32 v3, v3
	v_readfirstlane_b32 s35, v4
	v_readfirstlane_b32 s52, v3
	s_mul_i32 s54, s0, s35
	v_add_co_ci_u32_e64 v3, null, v1, v9, vcc_lo
	s_mul_hi_u32 s59, s0, s52
	s_mul_i32 s55, s53, s52
	s_add_i32 s54, s59, s54
	s_mul_i32 s60, s0, s52
	s_add_i32 s54, s54, s55
	s_mul_hi_u32 s59, s52, s60
	s_mul_i32 s62, s52, s54
	s_mul_hi_u32 s61, s35, s60
	s_mul_i32 s55, s35, s60
	s_mul_hi_u32 s60, s52, s54
	s_add_u32 s59, s59, s62
	s_addc_u32 s60, 0, s60
	s_mul_hi_u32 s63, s35, s54
	s_add_u32 s55, s59, s55
	s_mul_i32 s54, s35, s54
	s_addc_u32 s55, s60, s61
	s_addc_u32 s59, s63, 0
	s_add_u32 s54, s55, s54
	s_addc_u32 s55, 0, s59
	s_add_u32 s52, s52, s54
	s_cselect_b32 s54, -1, 0
	s_mul_hi_u32 s59, s0, s52
	s_cmp_lg_u32 s54, 0
	s_mul_i32 s54, s0, s52
	s_addc_u32 s35, s35, s55
	s_mul_i32 s53, s53, s52
	s_mul_i32 s0, s0, s35
	s_mul_hi_u32 s55, s52, s54
	s_add_i32 s0, s59, s0
	s_mul_hi_u32 s59, s35, s54
	s_add_i32 s0, s0, s53
	s_mul_i32 s53, s35, s54
	s_mul_i32 s61, s52, s0
	s_mul_hi_u32 s60, s52, s0
	s_add_u32 s55, s55, s61
	s_addc_u32 s60, 0, s60
	s_mul_hi_u32 s54, s35, s0
	s_add_u32 s53, s55, s53
	s_mul_i32 s0, s35, s0
	s_addc_u32 s53, s60, s59
	s_addc_u32 s54, s54, 0
	s_add_u32 s0, s53, s0
	s_addc_u32 s53, 0, s54
	s_add_u32 s0, s52, s0
	s_cselect_b32 s52, -1, 0
	v_xor_b32_e32 v11, v3, v9
	s_cmp_lg_u32 s52, 0
	v_mul_hi_u32 v12, v10, s0
	s_addc_u32 s35, s35, s53
	v_mad_u64_u32 v[3:4], null, v10, s35, 0
	v_mad_u64_u32 v[5:6], null, v11, s0, 0
	;; [unrolled: 1-line block ×3, first 2 shown]
	v_add_co_u32 v3, vcc_lo, v12, v3
	v_add_co_ci_u32_e64 v4, null, 0, v4, vcc_lo
	v_add_co_u32 v3, vcc_lo, v3, v5
	v_add_co_ci_u32_e32 v3, vcc_lo, v4, v6, vcc_lo
	v_add_co_ci_u32_e32 v4, vcc_lo, 0, v8, vcc_lo
	v_add_co_u32 v5, vcc_lo, v3, v7
	v_add_co_ci_u32_e64 v6, null, 0, v4, vcc_lo
	v_mul_lo_u32 v7, s3, v5
	v_mad_u64_u32 v[3:4], null, s2, v5, 0
	v_mul_lo_u32 v8, s2, v6
	v_sub_co_u32 v3, vcc_lo, v10, v3
	v_add3_u32 v4, v4, v8, v7
	v_add_co_u32 v8, s0, v5, 2
	v_add_co_ci_u32_e64 v10, null, 0, v6, s0
	v_sub_nc_u32_e32 v7, v11, v4
	v_sub_co_u32 v12, s0, v3, s2
	v_sub_co_ci_u32_e64 v4, null, v11, v4, vcc_lo
	v_subrev_co_ci_u32_e64 v7, null, s3, v7, vcc_lo
	v_cmp_le_u32_e32 vcc_lo, s2, v12
	v_subrev_co_ci_u32_e64 v7, null, 0, v7, s0
	v_cndmask_b32_e64 v11, 0, -1, vcc_lo
	v_cmp_le_u32_e32 vcc_lo, s3, v7
	v_cndmask_b32_e64 v12, 0, -1, vcc_lo
	v_cmp_le_u32_e32 vcc_lo, s2, v3
	;; [unrolled: 2-line block ×3, first 2 shown]
	v_cndmask_b32_e64 v13, 0, -1, vcc_lo
	v_cmp_eq_u32_e32 vcc_lo, s3, v7
	v_cndmask_b32_e32 v7, v12, v11, vcc_lo
	v_add_co_u32 v11, vcc_lo, v5, 1
	v_add_co_ci_u32_e64 v12, null, 0, v6, vcc_lo
	v_cmp_eq_u32_e32 vcc_lo, s3, v4
	v_cndmask_b32_e32 v3, v13, v3, vcc_lo
	v_cmp_ne_u32_e32 vcc_lo, 0, v7
	v_xor_b32_e32 v7, s34, v9
	v_cmp_ne_u32_e64 s0, 0, v3
	v_cndmask_b32_e32 v3, v11, v8, vcc_lo
	v_cndmask_b32_e32 v4, v12, v10, vcc_lo
	v_cndmask_b32_e64 v3, v5, v3, s0
	v_cndmask_b32_e64 v4, v6, v4, s0
	v_xor_b32_e32 v3, v3, v7
	v_xor_b32_e32 v5, v4, v7
	v_sub_co_u32 v4, vcc_lo, v3, v7
	v_sub_co_ci_u32_e64 v5, null, v5, v7, vcc_lo
.LBB6_6:                                ;   in Loop: Header=BB6_4 Depth=1
	s_andn2_saveexec_b32 s0, s1
	s_cbranch_execz .LBB6_8
; %bb.7:                                ;   in Loop: Header=BB6_4 Depth=1
	s_sub_i32 s1, 0, s8
	v_mul_lo_u32 v3, s1, v30
	v_mul_hi_u32 v3, v30, v3
	v_add_nc_u32_e32 v3, v30, v3
	v_mul_hi_u32 v3, v0, v3
	v_mul_lo_u32 v4, v3, s8
	v_add_nc_u32_e32 v5, 1, v3
	v_sub_nc_u32_e32 v4, v0, v4
	v_subrev_nc_u32_e32 v6, s8, v4
	v_cmp_le_u32_e32 vcc_lo, s8, v4
	v_cndmask_b32_e32 v4, v4, v6, vcc_lo
	v_cndmask_b32_e32 v3, v3, v5, vcc_lo
	v_cmp_le_u32_e32 vcc_lo, s8, v4
	v_add_nc_u32_e32 v5, 1, v3
	v_cndmask_b32_e32 v4, v3, v5, vcc_lo
	v_mov_b32_e32 v5, v2
.LBB6_8:                                ;   in Loop: Header=BB6_4 Depth=1
	s_or_b32 exec_lo, exec_lo, s0
	v_mul_lo_u32 v3, v5, s8
	v_mul_lo_u32 v8, v4, s9
	v_mad_u64_u32 v[6:7], null, v4, s8, 0
	s_mov_b32 s0, exec_lo
	v_add3_u32 v7, v7, v8, v3
	v_sub_co_u32 v31, vcc_lo, v0, v6
                                        ; implicit-def: $vgpr8_vgpr9
	v_sub_co_ci_u32_e64 v32, null, v1, v7, vcc_lo
	v_or_b32_e32 v3, s19, v32
	v_ashrrev_i32_e32 v14, 31, v32
	v_cmpx_ne_u64_e32 0, v[2:3]
	s_xor_b32 s1, exec_lo, s0
	s_cbranch_execz .LBB6_10
; %bb.9:                                ;   in Loop: Header=BB6_4 Depth=1
	s_ashr_i32 s2, s19, 31
	v_add_co_u32 v9, vcc_lo, v31, v14
	s_add_u32 s52, s18, s2
	s_mov_b32 s3, s2
	s_addc_u32 s53, s19, s2
	v_add_co_ci_u32_e64 v10, null, v32, v14, vcc_lo
	s_xor_b64 s[52:53], s[52:53], s[2:3]
	v_cvt_f32_u32_e32 v3, s52
	v_cvt_f32_u32_e32 v8, s53
	s_sub_u32 s35, 0, s52
	s_subb_u32 s54, 0, s53
	v_xor_b32_e32 v15, v10, v14
	v_fmac_f32_e32 v3, 0x4f800000, v8
	v_rcp_f32_e32 v3, v3
	v_mul_f32_e32 v3, 0x5f7ffffc, v3
	v_mul_f32_e32 v8, 0x2f800000, v3
	v_trunc_f32_e32 v8, v8
	v_fmac_f32_e32 v3, 0xcf800000, v8
	v_cvt_u32_f32_e32 v8, v8
	v_cvt_u32_f32_e32 v3, v3
	v_readfirstlane_b32 s0, v8
	v_readfirstlane_b32 s3, v3
	s_mul_i32 s55, s35, s0
	v_xor_b32_e32 v3, v9, v14
	s_mul_hi_u32 s60, s35, s3
	s_mul_i32 s59, s54, s3
	s_add_i32 s55, s60, s55
	s_mul_i32 s61, s35, s3
	s_add_i32 s55, s55, s59
	s_mul_hi_u32 s60, s3, s61
	s_mul_i32 s63, s3, s55
	s_mul_hi_u32 s62, s0, s61
	s_mul_i32 s59, s0, s61
	s_mul_hi_u32 s61, s3, s55
	s_add_u32 s60, s60, s63
	s_addc_u32 s61, 0, s61
	s_mul_hi_u32 s64, s0, s55
	s_add_u32 s59, s60, s59
	s_mul_i32 s55, s0, s55
	s_addc_u32 s59, s61, s62
	s_addc_u32 s60, s64, 0
	s_add_u32 s55, s59, s55
	s_addc_u32 s59, 0, s60
	s_add_u32 s3, s3, s55
	s_cselect_b32 s55, -1, 0
	s_mul_hi_u32 s60, s35, s3
	s_cmp_lg_u32 s55, 0
	s_mul_i32 s55, s35, s3
	s_addc_u32 s0, s0, s59
	s_mul_i32 s54, s54, s3
	s_mul_i32 s35, s35, s0
	s_mul_hi_u32 s59, s3, s55
	s_add_i32 s35, s60, s35
	s_mul_hi_u32 s60, s0, s55
	s_add_i32 s35, s35, s54
	s_mul_i32 s54, s0, s55
	s_mul_i32 s62, s3, s35
	s_mul_hi_u32 s61, s3, s35
	s_add_u32 s59, s59, s62
	s_addc_u32 s61, 0, s61
	s_mul_hi_u32 s55, s0, s35
	s_add_u32 s54, s59, s54
	s_mul_i32 s35, s0, s35
	s_addc_u32 s54, s61, s60
	s_addc_u32 s55, s55, 0
	s_add_u32 s35, s54, s35
	s_addc_u32 s54, 0, s55
	s_add_u32 s3, s3, s35
	s_cselect_b32 s35, -1, 0
	v_mul_hi_u32 v16, v3, s3
	s_cmp_lg_u32 s35, 0
	v_mad_u64_u32 v[10:11], null, v15, s3, 0
	s_addc_u32 s0, s0, s54
	v_mad_u64_u32 v[8:9], null, v3, s0, 0
	v_mad_u64_u32 v[12:13], null, v15, s0, 0
	v_add_co_u32 v8, vcc_lo, v16, v8
	v_add_co_ci_u32_e64 v9, null, 0, v9, vcc_lo
	v_add_co_u32 v8, vcc_lo, v8, v10
	v_add_co_ci_u32_e32 v8, vcc_lo, v9, v11, vcc_lo
	v_add_co_ci_u32_e32 v9, vcc_lo, 0, v13, vcc_lo
	v_add_co_u32 v10, vcc_lo, v8, v12
	v_add_co_ci_u32_e64 v11, null, 0, v9, vcc_lo
	v_mul_lo_u32 v12, s53, v10
	v_mad_u64_u32 v[8:9], null, s52, v10, 0
	v_mul_lo_u32 v13, s52, v11
	v_sub_co_u32 v3, vcc_lo, v3, v8
	v_add3_u32 v9, v9, v13, v12
	v_sub_nc_u32_e32 v12, v15, v9
	v_sub_co_ci_u32_e64 v9, null, v15, v9, vcc_lo
	v_subrev_co_ci_u32_e64 v8, null, s53, v12, vcc_lo
	v_add_co_u32 v12, s0, v10, 2
	v_add_co_ci_u32_e64 v13, null, 0, v11, s0
	v_sub_co_u32 v16, s0, v3, s52
	v_subrev_co_ci_u32_e64 v8, null, 0, v8, s0
	v_cmp_le_u32_e32 vcc_lo, s52, v16
	v_cndmask_b32_e64 v15, 0, -1, vcc_lo
	v_cmp_le_u32_e32 vcc_lo, s53, v8
	v_cndmask_b32_e64 v16, 0, -1, vcc_lo
	;; [unrolled: 2-line block ×4, first 2 shown]
	v_cmp_eq_u32_e32 vcc_lo, s53, v8
	v_cndmask_b32_e32 v8, v16, v15, vcc_lo
	v_add_co_u32 v15, vcc_lo, v10, 1
	v_add_co_ci_u32_e64 v16, null, 0, v11, vcc_lo
	v_cmp_eq_u32_e32 vcc_lo, s53, v9
	v_xor_b32_e32 v9, s2, v14
	v_cndmask_b32_e32 v3, v17, v3, vcc_lo
	v_cmp_ne_u32_e32 vcc_lo, 0, v8
	v_cmp_ne_u32_e64 s0, 0, v3
	v_cndmask_b32_e32 v3, v15, v12, vcc_lo
	v_cndmask_b32_e32 v8, v16, v13, vcc_lo
	v_cndmask_b32_e64 v3, v10, v3, s0
	v_cndmask_b32_e64 v8, v11, v8, s0
	v_xor_b32_e32 v3, v3, v9
	v_xor_b32_e32 v10, v8, v9
	v_sub_co_u32 v8, vcc_lo, v3, v9
	v_sub_co_ci_u32_e64 v9, null, v10, v9, vcc_lo
.LBB6_10:                               ;   in Loop: Header=BB6_4 Depth=1
	s_andn2_saveexec_b32 s0, s1
	s_cbranch_execz .LBB6_12
; %bb.11:                               ;   in Loop: Header=BB6_4 Depth=1
	v_cvt_f32_u32_e32 v3, s18
	s_sub_i32 s1, 0, s18
	v_rcp_iflag_f32_e32 v3, v3
	v_mul_f32_e32 v3, 0x4f7ffffe, v3
	v_cvt_u32_f32_e32 v3, v3
	v_mul_lo_u32 v8, s1, v3
	v_mul_hi_u32 v8, v3, v8
	v_add_nc_u32_e32 v3, v3, v8
	v_mul_hi_u32 v3, v31, v3
	v_mul_lo_u32 v8, v3, s18
	v_add_nc_u32_e32 v9, 1, v3
	v_sub_nc_u32_e32 v8, v31, v8
	v_subrev_nc_u32_e32 v10, s18, v8
	v_cmp_le_u32_e32 vcc_lo, s18, v8
	v_cndmask_b32_e32 v8, v8, v10, vcc_lo
	v_cndmask_b32_e32 v3, v3, v9, vcc_lo
	v_cmp_le_u32_e32 vcc_lo, s18, v8
	v_add_nc_u32_e32 v9, 1, v3
	v_cndmask_b32_e32 v8, v3, v9, vcc_lo
	v_mov_b32_e32 v9, v2
.LBB6_12:                               ;   in Loop: Header=BB6_4 Depth=1
	s_or_b32 exec_lo, exec_lo, s0
	v_or_b32_e32 v3, s17, v9
                                        ; implicit-def: $vgpr10_vgpr11
	s_mov_b32 s0, exec_lo
	v_cmpx_ne_u64_e32 0, v[2:3]
	s_xor_b32 s1, exec_lo, s0
	s_cbranch_execz .LBB6_14
; %bb.13:                               ;   in Loop: Header=BB6_4 Depth=1
	s_ashr_i32 s2, s17, 31
	v_ashrrev_i32_e32 v17, 31, v9
	s_add_u32 s52, s16, s2
	s_mov_b32 s3, s2
	s_addc_u32 s53, s17, s2
	s_xor_b64 s[2:3], s[52:53], s[2:3]
	v_add_co_u32 v11, vcc_lo, v8, v17
	v_cvt_f32_u32_e32 v3, s2
	v_cvt_f32_u32_e32 v10, s3
	s_sub_u32 s52, 0, s2
	s_subb_u32 s53, 0, s3
	v_add_co_ci_u32_e64 v12, null, v9, v17, vcc_lo
	v_fmac_f32_e32 v3, 0x4f800000, v10
	v_xor_b32_e32 v18, v12, v17
	v_rcp_f32_e32 v3, v3
	v_mul_f32_e32 v3, 0x5f7ffffc, v3
	v_mul_f32_e32 v10, 0x2f800000, v3
	v_trunc_f32_e32 v10, v10
	v_fmac_f32_e32 v3, 0xcf800000, v10
	v_cvt_u32_f32_e32 v10, v10
	v_cvt_u32_f32_e32 v3, v3
	v_readfirstlane_b32 s0, v10
	v_readfirstlane_b32 s35, v3
	s_mul_i32 s54, s52, s0
	v_xor_b32_e32 v3, v11, v17
	s_mul_hi_u32 s59, s52, s35
	s_mul_i32 s55, s53, s35
	s_add_i32 s54, s59, s54
	s_mul_i32 s60, s52, s35
	s_add_i32 s54, s54, s55
	s_mul_hi_u32 s59, s35, s60
	s_mul_i32 s62, s35, s54
	s_mul_hi_u32 s61, s0, s60
	s_mul_i32 s55, s0, s60
	s_mul_hi_u32 s60, s35, s54
	s_add_u32 s59, s59, s62
	s_addc_u32 s60, 0, s60
	s_mul_hi_u32 s63, s0, s54
	s_add_u32 s55, s59, s55
	s_mul_i32 s54, s0, s54
	s_addc_u32 s55, s60, s61
	s_addc_u32 s59, s63, 0
	s_add_u32 s54, s55, s54
	s_addc_u32 s55, 0, s59
	s_add_u32 s35, s35, s54
	s_cselect_b32 s54, -1, 0
	s_mul_hi_u32 s59, s52, s35
	s_cmp_lg_u32 s54, 0
	s_mul_i32 s54, s52, s35
	s_addc_u32 s0, s0, s55
	s_mul_i32 s53, s53, s35
	s_mul_i32 s52, s52, s0
	s_mul_hi_u32 s55, s35, s54
	s_add_i32 s52, s59, s52
	s_mul_hi_u32 s59, s0, s54
	s_add_i32 s52, s52, s53
	s_mul_i32 s53, s0, s54
	s_mul_i32 s61, s35, s52
	s_mul_hi_u32 s60, s35, s52
	s_add_u32 s55, s55, s61
	s_addc_u32 s60, 0, s60
	s_mul_hi_u32 s54, s0, s52
	s_add_u32 s53, s55, s53
	s_mul_i32 s52, s0, s52
	s_addc_u32 s53, s60, s59
	s_addc_u32 s54, s54, 0
	s_add_u32 s52, s53, s52
	s_addc_u32 s53, 0, s54
	s_add_u32 s35, s35, s52
	s_cselect_b32 s52, -1, 0
	v_mul_hi_u32 v19, v3, s35
	s_cmp_lg_u32 s52, 0
	v_mad_u64_u32 v[12:13], null, v18, s35, 0
	s_addc_u32 s0, s0, s53
	v_mad_u64_u32 v[10:11], null, v3, s0, 0
	v_mad_u64_u32 v[15:16], null, v18, s0, 0
	v_add_co_u32 v10, vcc_lo, v19, v10
	v_add_co_ci_u32_e64 v11, null, 0, v11, vcc_lo
	v_add_co_u32 v10, vcc_lo, v10, v12
	v_add_co_ci_u32_e32 v10, vcc_lo, v11, v13, vcc_lo
	v_add_co_ci_u32_e32 v11, vcc_lo, 0, v16, vcc_lo
	v_add_co_u32 v10, vcc_lo, v10, v15
	v_add_co_ci_u32_e64 v12, null, 0, v11, vcc_lo
	v_mul_lo_u32 v13, s3, v10
	v_mad_u64_u32 v[10:11], null, s2, v10, 0
	v_mul_lo_u32 v12, s2, v12
	v_sub_co_u32 v3, vcc_lo, v3, v10
	v_add3_u32 v11, v11, v12, v13
	v_cmp_le_u32_e64 s0, s2, v3
	v_sub_nc_u32_e32 v12, v18, v11
	v_sub_co_ci_u32_e64 v11, null, v18, v11, vcc_lo
	v_cndmask_b32_e64 v15, 0, -1, s0
	v_subrev_co_ci_u32_e64 v10, null, s3, v12, vcc_lo
	v_sub_co_u32 v12, vcc_lo, v3, s2
	v_subrev_co_ci_u32_e64 v13, null, 0, v10, vcc_lo
	v_cmp_le_u32_e64 s0, s2, v12
	v_subrev_co_ci_u32_e64 v10, null, s3, v10, vcc_lo
	v_cmp_le_u32_e32 vcc_lo, s3, v11
	v_cndmask_b32_e64 v16, 0, -1, s0
	v_cmp_le_u32_e64 s0, s3, v13
	v_cndmask_b32_e64 v19, 0, -1, vcc_lo
	v_cmp_eq_u32_e32 vcc_lo, s3, v13
	v_cndmask_b32_e64 v18, 0, -1, s0
	v_cmp_eq_u32_e64 s0, s3, v11
	v_cndmask_b32_e32 v16, v18, v16, vcc_lo
	v_sub_co_u32 v18, vcc_lo, v12, s2
	v_subrev_co_ci_u32_e64 v10, null, 0, v10, vcc_lo
	v_cmp_ne_u32_e32 vcc_lo, 0, v16
	v_cndmask_b32_e64 v15, v19, v15, s0
	v_cndmask_b32_e32 v10, v13, v10, vcc_lo
	v_cndmask_b32_e32 v12, v12, v18, vcc_lo
	v_cmp_ne_u32_e32 vcc_lo, 0, v15
	v_cndmask_b32_e32 v3, v3, v12, vcc_lo
	v_cndmask_b32_e32 v10, v11, v10, vcc_lo
	v_xor_b32_e32 v3, v3, v17
	v_xor_b32_e32 v11, v10, v17
	v_sub_co_u32 v10, vcc_lo, v3, v17
	v_sub_co_ci_u32_e64 v11, null, v11, v17, vcc_lo
.LBB6_14:                               ;   in Loop: Header=BB6_4 Depth=1
	s_andn2_saveexec_b32 s0, s1
	s_cbranch_execz .LBB6_16
; %bb.15:                               ;   in Loop: Header=BB6_4 Depth=1
	v_cvt_f32_u32_e32 v3, s16
	s_sub_i32 s1, 0, s16
	v_mov_b32_e32 v11, v2
	v_rcp_iflag_f32_e32 v3, v3
	v_mul_f32_e32 v3, 0x4f7ffffe, v3
	v_cvt_u32_f32_e32 v3, v3
	v_mul_lo_u32 v10, s1, v3
	v_mul_hi_u32 v10, v3, v10
	v_add_nc_u32_e32 v3, v3, v10
	v_mul_hi_u32 v3, v8, v3
	v_mul_lo_u32 v3, v3, s16
	v_sub_nc_u32_e32 v3, v8, v3
	v_subrev_nc_u32_e32 v10, s16, v3
	v_cmp_le_u32_e32 vcc_lo, s16, v3
	v_cndmask_b32_e32 v3, v3, v10, vcc_lo
	v_subrev_nc_u32_e32 v10, s16, v3
	v_cmp_le_u32_e32 vcc_lo, s16, v3
	v_cndmask_b32_e32 v10, v3, v10, vcc_lo
.LBB6_16:                               ;   in Loop: Header=BB6_4 Depth=1
	s_or_b32 exec_lo, exec_lo, s0
	v_or_b32_e32 v3, s57, v32
                                        ; implicit-def: $vgpr12_vgpr13
	s_mov_b32 s0, exec_lo
	v_cmpx_ne_u64_e32 0, v[2:3]
	s_xor_b32 s1, exec_lo, s0
	s_cbranch_execz .LBB6_18
; %bb.17:                               ;   in Loop: Header=BB6_4 Depth=1
	s_ashr_i32 s2, s57, 31
	v_add_co_u32 v13, vcc_lo, v31, v14
	s_add_u32 s52, s33, s2
	s_mov_b32 s3, s2
	s_addc_u32 s53, s57, s2
	v_add_co_ci_u32_e64 v15, null, v32, v14, vcc_lo
	s_xor_b64 s[52:53], s[52:53], s[2:3]
	v_cvt_f32_u32_e32 v3, s52
	v_cvt_f32_u32_e32 v12, s53
	s_sub_u32 s35, 0, s52
	s_subb_u32 s54, 0, s53
	v_xor_b32_e32 v19, v15, v14
	v_fmac_f32_e32 v3, 0x4f800000, v12
	v_rcp_f32_e32 v3, v3
	v_mul_f32_e32 v3, 0x5f7ffffc, v3
	v_mul_f32_e32 v12, 0x2f800000, v3
	v_trunc_f32_e32 v12, v12
	v_fmac_f32_e32 v3, 0xcf800000, v12
	v_cvt_u32_f32_e32 v12, v12
	v_cvt_u32_f32_e32 v3, v3
	v_readfirstlane_b32 s0, v12
	v_readfirstlane_b32 s3, v3
	s_mul_i32 s55, s35, s0
	v_xor_b32_e32 v3, v13, v14
	s_mul_hi_u32 s60, s35, s3
	s_mul_i32 s59, s54, s3
	s_add_i32 s55, s60, s55
	s_mul_i32 s61, s35, s3
	s_add_i32 s55, s55, s59
	s_mul_hi_u32 s60, s3, s61
	s_mul_i32 s63, s3, s55
	s_mul_hi_u32 s62, s0, s61
	s_mul_i32 s59, s0, s61
	s_mul_hi_u32 s61, s3, s55
	s_add_u32 s60, s60, s63
	s_addc_u32 s61, 0, s61
	s_mul_hi_u32 s64, s0, s55
	s_add_u32 s59, s60, s59
	s_mul_i32 s55, s0, s55
	s_addc_u32 s59, s61, s62
	s_addc_u32 s60, s64, 0
	s_add_u32 s55, s59, s55
	s_addc_u32 s59, 0, s60
	s_add_u32 s3, s3, s55
	s_cselect_b32 s55, -1, 0
	s_mul_hi_u32 s60, s35, s3
	s_cmp_lg_u32 s55, 0
	s_mul_i32 s55, s35, s3
	s_addc_u32 s0, s0, s59
	s_mul_i32 s54, s54, s3
	s_mul_i32 s35, s35, s0
	s_mul_hi_u32 s59, s3, s55
	s_add_i32 s35, s60, s35
	s_mul_hi_u32 s60, s0, s55
	s_add_i32 s35, s35, s54
	s_mul_i32 s54, s0, s55
	s_mul_i32 s62, s3, s35
	s_mul_hi_u32 s61, s3, s35
	s_add_u32 s59, s59, s62
	s_addc_u32 s61, 0, s61
	s_mul_hi_u32 s55, s0, s35
	s_add_u32 s54, s59, s54
	s_mul_i32 s35, s0, s35
	s_addc_u32 s54, s61, s60
	s_addc_u32 s55, s55, 0
	s_add_u32 s35, s54, s35
	s_addc_u32 s54, 0, s55
	s_add_u32 s3, s3, s35
	s_cselect_b32 s35, -1, 0
	v_mul_hi_u32 v20, v3, s3
	s_cmp_lg_u32 s35, 0
	v_mad_u64_u32 v[15:16], null, v19, s3, 0
	s_addc_u32 s0, s0, s54
	v_mad_u64_u32 v[12:13], null, v3, s0, 0
	v_mad_u64_u32 v[17:18], null, v19, s0, 0
	v_add_co_u32 v12, vcc_lo, v20, v12
	v_add_co_ci_u32_e64 v13, null, 0, v13, vcc_lo
	v_add_co_u32 v12, vcc_lo, v12, v15
	v_add_co_ci_u32_e32 v12, vcc_lo, v13, v16, vcc_lo
	v_add_co_ci_u32_e32 v13, vcc_lo, 0, v18, vcc_lo
	v_add_co_u32 v15, vcc_lo, v12, v17
	v_add_co_ci_u32_e64 v16, null, 0, v13, vcc_lo
	v_mul_lo_u32 v17, s53, v15
	v_mad_u64_u32 v[12:13], null, s52, v15, 0
	v_mul_lo_u32 v18, s52, v16
	v_sub_co_u32 v3, vcc_lo, v3, v12
	v_add3_u32 v13, v13, v18, v17
	v_sub_nc_u32_e32 v17, v19, v13
	v_sub_co_ci_u32_e64 v13, null, v19, v13, vcc_lo
	v_subrev_co_ci_u32_e64 v12, null, s53, v17, vcc_lo
	v_add_co_u32 v17, s0, v15, 2
	v_add_co_ci_u32_e64 v18, null, 0, v16, s0
	v_sub_co_u32 v20, s0, v3, s52
	v_subrev_co_ci_u32_e64 v12, null, 0, v12, s0
	v_cmp_le_u32_e32 vcc_lo, s52, v20
	v_cndmask_b32_e64 v19, 0, -1, vcc_lo
	v_cmp_le_u32_e32 vcc_lo, s53, v12
	v_cndmask_b32_e64 v20, 0, -1, vcc_lo
	;; [unrolled: 2-line block ×4, first 2 shown]
	v_cmp_eq_u32_e32 vcc_lo, s53, v12
	v_cndmask_b32_e32 v12, v20, v19, vcc_lo
	v_add_co_u32 v19, vcc_lo, v15, 1
	v_add_co_ci_u32_e64 v20, null, 0, v16, vcc_lo
	v_cmp_eq_u32_e32 vcc_lo, s53, v13
	v_xor_b32_e32 v13, s2, v14
	v_cndmask_b32_e32 v3, v21, v3, vcc_lo
	v_cmp_ne_u32_e32 vcc_lo, 0, v12
	v_cmp_ne_u32_e64 s0, 0, v3
	v_cndmask_b32_e32 v3, v19, v17, vcc_lo
	v_cndmask_b32_e32 v12, v20, v18, vcc_lo
	v_cndmask_b32_e64 v3, v15, v3, s0
	v_cndmask_b32_e64 v12, v16, v12, s0
	v_xor_b32_e32 v3, v3, v13
	v_xor_b32_e32 v14, v12, v13
	v_sub_co_u32 v12, vcc_lo, v3, v13
	v_sub_co_ci_u32_e64 v13, null, v14, v13, vcc_lo
.LBB6_18:                               ;   in Loop: Header=BB6_4 Depth=1
	s_andn2_saveexec_b32 s0, s1
	s_cbranch_execz .LBB6_20
; %bb.19:                               ;   in Loop: Header=BB6_4 Depth=1
	v_cvt_f32_u32_e32 v3, s33
	s_sub_i32 s1, 0, s33
	v_rcp_iflag_f32_e32 v3, v3
	v_mul_f32_e32 v3, 0x4f7ffffe, v3
	v_cvt_u32_f32_e32 v3, v3
	v_mul_lo_u32 v12, s1, v3
	v_mul_hi_u32 v12, v3, v12
	v_add_nc_u32_e32 v3, v3, v12
	v_mul_hi_u32 v3, v31, v3
	v_mul_lo_u32 v12, v3, s33
	v_add_nc_u32_e32 v13, 1, v3
	v_sub_nc_u32_e32 v12, v31, v12
	v_subrev_nc_u32_e32 v14, s33, v12
	v_cmp_le_u32_e32 vcc_lo, s33, v12
	v_cndmask_b32_e32 v12, v12, v14, vcc_lo
	v_cndmask_b32_e32 v3, v3, v13, vcc_lo
	v_cmp_le_u32_e32 vcc_lo, s33, v12
	v_add_nc_u32_e32 v13, 1, v3
	v_cndmask_b32_e32 v12, v3, v13, vcc_lo
	v_mov_b32_e32 v13, v2
.LBB6_20:                               ;   in Loop: Header=BB6_4 Depth=1
	s_or_b32 exec_lo, exec_lo, s0
	v_mul_lo_u32 v3, v9, s18
	v_mul_lo_u32 v9, v8, s19
	v_mad_u64_u32 v[14:15], null, v8, s18, 0
	s_mov_b32 s1, exec_lo
	v_add3_u32 v15, v15, v9, v3
	v_sub_co_u32 v3, vcc_lo, v31, v14
	v_sub_co_ci_u32_e64 v8, null, v32, v15, vcc_lo
	v_add_co_u32 v16, vcc_lo, v3, s38
	v_add_co_ci_u32_e64 v17, null, s39, v8, vcc_lo
	v_mov_b32_e32 v8, 0
	v_mov_b32_e32 v9, 0
	v_cmpx_lt_i64_e64 s[24:25], v[16:17]
	s_cbranch_execz .LBB6_26
; %bb.21:                               ;   in Loop: Header=BB6_4 Depth=1
	v_add_co_u32 v18, vcc_lo, v16, s28
	v_add_co_ci_u32_e64 v19, null, s29, v17, vcc_lo
                                        ; implicit-def: $vgpr8_vgpr9
	s_mov_b32 s0, exec_lo
	v_or_b32_e32 v3, s43, v19
	v_cmpx_ne_u64_e32 0, v[2:3]
	s_xor_b32 s35, exec_lo, s0
	s_cbranch_execz .LBB6_23
; %bb.22:                               ;   in Loop: Header=BB6_4 Depth=1
	s_ashr_i32 s2, s43, 31
	v_ashrrev_i32_e32 v22, 31, v19
	s_add_u32 s52, s42, s2
	s_mov_b32 s3, s2
	s_addc_u32 s53, s43, s2
	s_xor_b64 s[52:53], s[52:53], s[2:3]
	v_add_co_u32 v9, vcc_lo, v18, v22
	v_cvt_f32_u32_e32 v3, s52
	v_cvt_f32_u32_e32 v8, s53
	s_sub_u32 s54, 0, s52
	s_subb_u32 s55, 0, s53
	v_add_co_ci_u32_e64 v18, null, v19, v22, vcc_lo
	v_fmac_f32_e32 v3, 0x4f800000, v8
	v_xor_b32_e32 v23, v18, v22
	v_rcp_f32_e32 v3, v3
	v_mul_f32_e32 v3, 0x5f7ffffc, v3
	v_mul_f32_e32 v8, 0x2f800000, v3
	v_trunc_f32_e32 v8, v8
	v_fmac_f32_e32 v3, 0xcf800000, v8
	v_cvt_u32_f32_e32 v8, v8
	v_cvt_u32_f32_e32 v3, v3
	v_readfirstlane_b32 s0, v8
	v_readfirstlane_b32 s3, v3
	s_mul_i32 s59, s54, s0
	v_xor_b32_e32 v3, v9, v22
	s_mul_hi_u32 s61, s54, s3
	s_mul_i32 s60, s55, s3
	s_add_i32 s59, s61, s59
	s_mul_i32 s62, s54, s3
	s_add_i32 s59, s59, s60
	s_mul_hi_u32 s61, s3, s62
	s_mul_i32 s64, s3, s59
	s_mul_hi_u32 s63, s0, s62
	s_mul_i32 s60, s0, s62
	s_mul_hi_u32 s62, s3, s59
	s_add_u32 s61, s61, s64
	s_addc_u32 s62, 0, s62
	s_mul_hi_u32 s65, s0, s59
	s_add_u32 s60, s61, s60
	s_mul_i32 s59, s0, s59
	s_addc_u32 s60, s62, s63
	s_addc_u32 s61, s65, 0
	s_add_u32 s59, s60, s59
	s_addc_u32 s60, 0, s61
	s_add_u32 s3, s3, s59
	s_cselect_b32 s59, -1, 0
	s_mul_hi_u32 s61, s54, s3
	s_cmp_lg_u32 s59, 0
	s_mul_i32 s59, s54, s3
	s_addc_u32 s0, s0, s60
	s_mul_i32 s55, s55, s3
	s_mul_i32 s54, s54, s0
	s_mul_hi_u32 s60, s3, s59
	s_add_i32 s54, s61, s54
	s_mul_hi_u32 s61, s0, s59
	s_add_i32 s54, s54, s55
	s_mul_i32 s55, s0, s59
	s_mul_i32 s63, s3, s54
	s_mul_hi_u32 s62, s3, s54
	s_add_u32 s60, s60, s63
	s_addc_u32 s62, 0, s62
	s_mul_hi_u32 s59, s0, s54
	s_add_u32 s55, s60, s55
	s_mul_i32 s54, s0, s54
	s_addc_u32 s55, s62, s61
	s_addc_u32 s59, s59, 0
	s_add_u32 s54, s55, s54
	s_addc_u32 s55, 0, s59
	s_add_u32 s3, s3, s54
	s_cselect_b32 s54, -1, 0
	v_mul_hi_u32 v24, v3, s3
	s_cmp_lg_u32 s54, 0
	v_mad_u64_u32 v[18:19], null, v23, s3, 0
	s_addc_u32 s0, s0, s55
	v_mad_u64_u32 v[8:9], null, v3, s0, 0
	v_mad_u64_u32 v[20:21], null, v23, s0, 0
	v_add_co_u32 v8, vcc_lo, v24, v8
	v_add_co_ci_u32_e64 v9, null, 0, v9, vcc_lo
	v_add_co_u32 v8, vcc_lo, v8, v18
	v_add_co_ci_u32_e32 v8, vcc_lo, v9, v19, vcc_lo
	v_add_co_ci_u32_e32 v9, vcc_lo, 0, v21, vcc_lo
	v_add_co_u32 v18, vcc_lo, v8, v20
	v_add_co_ci_u32_e64 v19, null, 0, v9, vcc_lo
	v_mul_lo_u32 v20, s53, v18
	v_mad_u64_u32 v[8:9], null, s52, v18, 0
	v_mul_lo_u32 v21, s52, v19
	v_sub_co_u32 v3, vcc_lo, v3, v8
	v_add3_u32 v9, v9, v21, v20
	v_sub_nc_u32_e32 v20, v23, v9
	v_sub_co_ci_u32_e64 v9, null, v23, v9, vcc_lo
	v_subrev_co_ci_u32_e64 v8, null, s53, v20, vcc_lo
	v_add_co_u32 v20, s0, v18, 2
	v_add_co_ci_u32_e64 v21, null, 0, v19, s0
	v_sub_co_u32 v24, s0, v3, s52
	v_subrev_co_ci_u32_e64 v8, null, 0, v8, s0
	v_cmp_le_u32_e32 vcc_lo, s52, v24
	v_cndmask_b32_e64 v23, 0, -1, vcc_lo
	v_cmp_le_u32_e32 vcc_lo, s53, v8
	v_cndmask_b32_e64 v24, 0, -1, vcc_lo
	;; [unrolled: 2-line block ×4, first 2 shown]
	v_cmp_eq_u32_e32 vcc_lo, s53, v8
	v_cndmask_b32_e32 v8, v24, v23, vcc_lo
	v_add_co_u32 v23, vcc_lo, v18, 1
	v_add_co_ci_u32_e64 v24, null, 0, v19, vcc_lo
	v_cmp_eq_u32_e32 vcc_lo, s53, v9
	v_xor_b32_e32 v9, s2, v22
	v_cndmask_b32_e32 v3, v25, v3, vcc_lo
	v_cmp_ne_u32_e32 vcc_lo, 0, v8
	v_cmp_ne_u32_e64 s0, 0, v3
	v_cndmask_b32_e32 v3, v23, v20, vcc_lo
	v_cndmask_b32_e32 v8, v24, v21, vcc_lo
	v_cndmask_b32_e64 v3, v18, v3, s0
	v_cndmask_b32_e64 v8, v19, v8, s0
	v_xor_b32_e32 v3, v3, v9
	v_xor_b32_e32 v18, v8, v9
	v_sub_co_u32 v8, vcc_lo, v3, v9
	v_sub_co_ci_u32_e64 v9, null, v18, v9, vcc_lo
                                        ; implicit-def: $vgpr18
.LBB6_23:                               ;   in Loop: Header=BB6_4 Depth=1
	s_andn2_saveexec_b32 s0, s35
	s_cbranch_execz .LBB6_25
; %bb.24:                               ;   in Loop: Header=BB6_4 Depth=1
	v_cvt_f32_u32_e32 v3, s42
	s_sub_i32 s2, 0, s42
	v_rcp_iflag_f32_e32 v3, v3
	v_mul_f32_e32 v3, 0x4f7ffffe, v3
	v_cvt_u32_f32_e32 v3, v3
	v_mul_lo_u32 v8, s2, v3
	v_mul_hi_u32 v8, v3, v8
	v_add_nc_u32_e32 v3, v3, v8
	v_mul_hi_u32 v3, v18, v3
	v_mul_lo_u32 v8, v3, s42
	v_add_nc_u32_e32 v9, 1, v3
	v_sub_nc_u32_e32 v8, v18, v8
	v_subrev_nc_u32_e32 v18, s42, v8
	v_cmp_le_u32_e32 vcc_lo, s42, v8
	v_cndmask_b32_e32 v8, v8, v18, vcc_lo
	v_cndmask_b32_e32 v3, v3, v9, vcc_lo
	v_cmp_le_u32_e32 vcc_lo, s42, v8
	v_add_nc_u32_e32 v9, 1, v3
	v_cndmask_b32_e32 v8, v3, v9, vcc_lo
	v_mov_b32_e32 v9, v2
.LBB6_25:                               ;   in Loop: Header=BB6_4 Depth=1
	s_or_b32 exec_lo, exec_lo, s0
	v_add_co_u32 v8, vcc_lo, v8, 1
	v_add_co_ci_u32_e64 v9, null, 0, v9, vcc_lo
.LBB6_26:                               ;   in Loop: Header=BB6_4 Depth=1
	s_or_b32 exec_lo, exec_lo, s1
	v_or_b32_e32 v3, s43, v17
                                        ; implicit-def: $vgpr20_vgpr21
	s_mov_b32 s0, exec_lo
	v_cmpx_ne_u64_e32 0, v[2:3]
	s_xor_b32 s1, exec_lo, s0
	s_cbranch_execz .LBB6_28
; %bb.27:                               ;   in Loop: Header=BB6_4 Depth=1
	s_ashr_i32 s2, s43, 31
	v_ashrrev_i32_e32 v22, 31, v17
	s_add_u32 s52, s42, s2
	s_mov_b32 s3, s2
	s_addc_u32 s53, s43, s2
	s_xor_b64 s[52:53], s[52:53], s[2:3]
	v_add_co_u32 v16, vcc_lo, v16, v22
	v_cvt_f32_u32_e32 v3, s52
	v_cvt_f32_u32_e32 v18, s53
	s_sub_u32 s35, 0, s52
	s_subb_u32 s54, 0, s53
	v_add_co_ci_u32_e64 v17, null, v17, v22, vcc_lo
	v_fmac_f32_e32 v3, 0x4f800000, v18
	v_xor_b32_e32 v23, v17, v22
	v_rcp_f32_e32 v3, v3
	v_mul_f32_e32 v3, 0x5f7ffffc, v3
	v_mul_f32_e32 v18, 0x2f800000, v3
	v_trunc_f32_e32 v18, v18
	v_fmac_f32_e32 v3, 0xcf800000, v18
	v_cvt_u32_f32_e32 v18, v18
	v_cvt_u32_f32_e32 v3, v3
	v_readfirstlane_b32 s0, v18
	v_readfirstlane_b32 s3, v3
	s_mul_i32 s55, s35, s0
	v_xor_b32_e32 v3, v16, v22
	s_mul_hi_u32 s60, s35, s3
	s_mul_i32 s59, s54, s3
	s_add_i32 s55, s60, s55
	s_mul_i32 s61, s35, s3
	s_add_i32 s55, s55, s59
	s_mul_hi_u32 s60, s3, s61
	s_mul_i32 s63, s3, s55
	s_mul_hi_u32 s62, s0, s61
	s_mul_i32 s59, s0, s61
	s_mul_hi_u32 s61, s3, s55
	s_add_u32 s60, s60, s63
	s_addc_u32 s61, 0, s61
	s_mul_hi_u32 s64, s0, s55
	s_add_u32 s59, s60, s59
	s_mul_i32 s55, s0, s55
	s_addc_u32 s59, s61, s62
	s_addc_u32 s60, s64, 0
	s_add_u32 s55, s59, s55
	s_addc_u32 s59, 0, s60
	s_add_u32 s3, s3, s55
	s_cselect_b32 s55, -1, 0
	s_mul_hi_u32 s60, s35, s3
	s_cmp_lg_u32 s55, 0
	s_mul_i32 s55, s35, s3
	s_addc_u32 s0, s0, s59
	s_mul_i32 s54, s54, s3
	s_mul_i32 s35, s35, s0
	s_mul_hi_u32 s59, s3, s55
	s_add_i32 s35, s60, s35
	s_mul_hi_u32 s60, s0, s55
	s_add_i32 s35, s35, s54
	s_mul_i32 s54, s0, s55
	s_mul_i32 s62, s3, s35
	s_mul_hi_u32 s61, s3, s35
	s_add_u32 s59, s59, s62
	s_addc_u32 s61, 0, s61
	s_mul_hi_u32 s55, s0, s35
	s_add_u32 s54, s59, s54
	s_mul_i32 s35, s0, s35
	s_addc_u32 s54, s61, s60
	s_addc_u32 s55, s55, 0
	s_add_u32 s35, s54, s35
	s_addc_u32 s54, 0, s55
	s_add_u32 s3, s3, s35
	s_cselect_b32 s35, -1, 0
	v_mul_hi_u32 v24, v3, s3
	s_cmp_lg_u32 s35, 0
	v_mad_u64_u32 v[18:19], null, v23, s3, 0
	s_addc_u32 s0, s0, s54
	v_mad_u64_u32 v[16:17], null, v3, s0, 0
	v_mad_u64_u32 v[20:21], null, v23, s0, 0
	v_add_co_u32 v16, vcc_lo, v24, v16
	v_add_co_ci_u32_e64 v17, null, 0, v17, vcc_lo
	v_add_co_u32 v16, vcc_lo, v16, v18
	v_add_co_ci_u32_e32 v16, vcc_lo, v17, v19, vcc_lo
	v_add_co_ci_u32_e32 v17, vcc_lo, 0, v21, vcc_lo
	v_add_co_u32 v18, vcc_lo, v16, v20
	v_add_co_ci_u32_e64 v19, null, 0, v17, vcc_lo
	v_mul_lo_u32 v20, s53, v18
	v_mad_u64_u32 v[16:17], null, s52, v18, 0
	v_mul_lo_u32 v21, s52, v19
	v_sub_co_u32 v3, vcc_lo, v3, v16
	v_add3_u32 v17, v17, v21, v20
	v_sub_nc_u32_e32 v20, v23, v17
	v_sub_co_ci_u32_e64 v17, null, v23, v17, vcc_lo
	v_subrev_co_ci_u32_e64 v16, null, s53, v20, vcc_lo
	v_add_co_u32 v20, s0, v18, 2
	v_add_co_ci_u32_e64 v21, null, 0, v19, s0
	v_sub_co_u32 v24, s0, v3, s52
	v_subrev_co_ci_u32_e64 v16, null, 0, v16, s0
	v_cmp_le_u32_e32 vcc_lo, s52, v24
	v_cndmask_b32_e64 v23, 0, -1, vcc_lo
	v_cmp_le_u32_e32 vcc_lo, s53, v16
	v_cndmask_b32_e64 v24, 0, -1, vcc_lo
	;; [unrolled: 2-line block ×4, first 2 shown]
	v_cmp_eq_u32_e32 vcc_lo, s53, v16
	v_cndmask_b32_e32 v16, v24, v23, vcc_lo
	v_add_co_u32 v23, vcc_lo, v18, 1
	v_add_co_ci_u32_e64 v24, null, 0, v19, vcc_lo
	v_cmp_eq_u32_e32 vcc_lo, s53, v17
	v_xor_b32_e32 v17, s2, v22
	v_cndmask_b32_e32 v3, v25, v3, vcc_lo
	v_cmp_ne_u32_e32 vcc_lo, 0, v16
	v_cmp_ne_u32_e64 s0, 0, v3
	v_cndmask_b32_e32 v3, v23, v20, vcc_lo
	v_cndmask_b32_e32 v16, v24, v21, vcc_lo
	v_cndmask_b32_e64 v3, v18, v3, s0
	v_cndmask_b32_e64 v16, v19, v16, s0
	v_xor_b32_e32 v3, v3, v17
	v_xor_b32_e32 v16, v16, v17
	v_sub_co_u32 v20, vcc_lo, v3, v17
	v_sub_co_ci_u32_e64 v21, null, v16, v17, vcc_lo
                                        ; implicit-def: $vgpr16
.LBB6_28:                               ;   in Loop: Header=BB6_4 Depth=1
	s_andn2_saveexec_b32 s0, s1
	s_cbranch_execz .LBB6_30
; %bb.29:                               ;   in Loop: Header=BB6_4 Depth=1
	v_cvt_f32_u32_e32 v3, s42
	s_sub_i32 s1, 0, s42
	v_mov_b32_e32 v21, v2
	v_rcp_iflag_f32_e32 v3, v3
	v_mul_f32_e32 v3, 0x4f7ffffe, v3
	v_cvt_u32_f32_e32 v3, v3
	v_mul_lo_u32 v17, s1, v3
	v_mul_hi_u32 v17, v3, v17
	v_add_nc_u32_e32 v3, v3, v17
	v_mul_hi_u32 v3, v16, v3
	v_mul_lo_u32 v17, v3, s42
	v_sub_nc_u32_e32 v16, v16, v17
	v_add_nc_u32_e32 v17, 1, v3
	v_subrev_nc_u32_e32 v18, s42, v16
	v_cmp_le_u32_e32 vcc_lo, s42, v16
	v_cndmask_b32_e32 v16, v16, v18, vcc_lo
	v_cndmask_b32_e32 v3, v3, v17, vcc_lo
	v_cmp_le_u32_e32 vcc_lo, s42, v16
	v_add_nc_u32_e32 v17, 1, v3
	v_cndmask_b32_e32 v20, v3, v17, vcc_lo
.LBB6_30:                               ;   in Loop: Header=BB6_4 Depth=1
	s_or_b32 exec_lo, exec_lo, s0
	v_add_co_u32 v10, vcc_lo, v10, s36
	v_mov_b32_e32 v16, 0
	v_add_co_ci_u32_e64 v11, null, s37, v11, vcc_lo
	v_mov_b32_e32 v17, 0
	s_mov_b32 s1, exec_lo
	v_cmpx_lt_i64_e64 s[26:27], v[10:11]
	s_cbranch_execz .LBB6_36
; %bb.31:                               ;   in Loop: Header=BB6_4 Depth=1
	v_add_co_u32 v18, vcc_lo, v10, s30
	v_add_co_ci_u32_e64 v19, null, s31, v11, vcc_lo
                                        ; implicit-def: $vgpr16_vgpr17
	s_mov_b32 s0, exec_lo
	v_or_b32_e32 v3, s41, v19
	v_cmpx_ne_u64_e32 0, v[2:3]
	s_xor_b32 s35, exec_lo, s0
	s_cbranch_execz .LBB6_33
; %bb.32:                               ;   in Loop: Header=BB6_4 Depth=1
	s_ashr_i32 s2, s41, 31
	v_ashrrev_i32_e32 v24, 31, v19
	s_add_u32 s52, s40, s2
	s_mov_b32 s3, s2
	s_addc_u32 s53, s41, s2
	s_xor_b64 s[52:53], s[52:53], s[2:3]
	v_add_co_u32 v17, vcc_lo, v18, v24
	v_cvt_f32_u32_e32 v3, s52
	v_cvt_f32_u32_e32 v16, s53
	s_sub_u32 s54, 0, s52
	s_subb_u32 s55, 0, s53
	v_add_co_ci_u32_e64 v18, null, v19, v24, vcc_lo
	v_fmac_f32_e32 v3, 0x4f800000, v16
	v_xor_b32_e32 v25, v18, v24
	v_rcp_f32_e32 v3, v3
	v_mul_f32_e32 v3, 0x5f7ffffc, v3
	v_mul_f32_e32 v16, 0x2f800000, v3
	v_trunc_f32_e32 v16, v16
	v_fmac_f32_e32 v3, 0xcf800000, v16
	v_cvt_u32_f32_e32 v16, v16
	v_cvt_u32_f32_e32 v3, v3
	v_readfirstlane_b32 s0, v16
	v_readfirstlane_b32 s3, v3
	s_mul_i32 s59, s54, s0
	v_xor_b32_e32 v3, v17, v24
	s_mul_hi_u32 s61, s54, s3
	s_mul_i32 s60, s55, s3
	s_add_i32 s59, s61, s59
	s_mul_i32 s62, s54, s3
	s_add_i32 s59, s59, s60
	s_mul_hi_u32 s61, s3, s62
	s_mul_i32 s64, s3, s59
	s_mul_hi_u32 s63, s0, s62
	s_mul_i32 s60, s0, s62
	s_mul_hi_u32 s62, s3, s59
	s_add_u32 s61, s61, s64
	s_addc_u32 s62, 0, s62
	s_mul_hi_u32 s65, s0, s59
	s_add_u32 s60, s61, s60
	s_mul_i32 s59, s0, s59
	s_addc_u32 s60, s62, s63
	s_addc_u32 s61, s65, 0
	s_add_u32 s59, s60, s59
	s_addc_u32 s60, 0, s61
	s_add_u32 s3, s3, s59
	s_cselect_b32 s59, -1, 0
	s_mul_hi_u32 s61, s54, s3
	s_cmp_lg_u32 s59, 0
	s_mul_i32 s59, s54, s3
	s_addc_u32 s0, s0, s60
	s_mul_i32 s55, s55, s3
	s_mul_i32 s54, s54, s0
	s_mul_hi_u32 s60, s3, s59
	s_add_i32 s54, s61, s54
	s_mul_hi_u32 s61, s0, s59
	s_add_i32 s54, s54, s55
	s_mul_i32 s55, s0, s59
	s_mul_i32 s63, s3, s54
	s_mul_hi_u32 s62, s3, s54
	s_add_u32 s60, s60, s63
	s_addc_u32 s62, 0, s62
	s_mul_hi_u32 s59, s0, s54
	s_add_u32 s55, s60, s55
	s_mul_i32 s54, s0, s54
	s_addc_u32 s55, s62, s61
	s_addc_u32 s59, s59, 0
	s_add_u32 s54, s55, s54
	s_addc_u32 s55, 0, s59
	s_add_u32 s3, s3, s54
	s_cselect_b32 s54, -1, 0
	v_mul_hi_u32 v26, v3, s3
	s_cmp_lg_u32 s54, 0
	v_mad_u64_u32 v[18:19], null, v25, s3, 0
	s_addc_u32 s0, s0, s55
	v_mad_u64_u32 v[16:17], null, v3, s0, 0
	v_mad_u64_u32 v[22:23], null, v25, s0, 0
	v_add_co_u32 v16, vcc_lo, v26, v16
	v_add_co_ci_u32_e64 v17, null, 0, v17, vcc_lo
	v_add_co_u32 v16, vcc_lo, v16, v18
	v_add_co_ci_u32_e32 v16, vcc_lo, v17, v19, vcc_lo
	v_add_co_ci_u32_e32 v17, vcc_lo, 0, v23, vcc_lo
	v_add_co_u32 v18, vcc_lo, v16, v22
	v_add_co_ci_u32_e64 v19, null, 0, v17, vcc_lo
	v_mul_lo_u32 v22, s53, v18
	v_mad_u64_u32 v[16:17], null, s52, v18, 0
	v_mul_lo_u32 v23, s52, v19
	v_sub_co_u32 v3, vcc_lo, v3, v16
	v_add3_u32 v17, v17, v23, v22
	v_sub_nc_u32_e32 v22, v25, v17
	v_sub_co_ci_u32_e64 v17, null, v25, v17, vcc_lo
	v_subrev_co_ci_u32_e64 v16, null, s53, v22, vcc_lo
	v_add_co_u32 v22, s0, v18, 2
	v_add_co_ci_u32_e64 v23, null, 0, v19, s0
	v_sub_co_u32 v26, s0, v3, s52
	v_subrev_co_ci_u32_e64 v16, null, 0, v16, s0
	v_cmp_le_u32_e32 vcc_lo, s52, v26
	v_cndmask_b32_e64 v25, 0, -1, vcc_lo
	v_cmp_le_u32_e32 vcc_lo, s53, v16
	v_cndmask_b32_e64 v26, 0, -1, vcc_lo
	;; [unrolled: 2-line block ×4, first 2 shown]
	v_cmp_eq_u32_e32 vcc_lo, s53, v16
	v_cndmask_b32_e32 v16, v26, v25, vcc_lo
	v_add_co_u32 v25, vcc_lo, v18, 1
	v_add_co_ci_u32_e64 v26, null, 0, v19, vcc_lo
	v_cmp_eq_u32_e32 vcc_lo, s53, v17
	v_xor_b32_e32 v17, s2, v24
	v_cndmask_b32_e32 v3, v27, v3, vcc_lo
	v_cmp_ne_u32_e32 vcc_lo, 0, v16
	v_cmp_ne_u32_e64 s0, 0, v3
	v_cndmask_b32_e32 v3, v25, v22, vcc_lo
	v_cndmask_b32_e32 v16, v26, v23, vcc_lo
	v_cndmask_b32_e64 v3, v18, v3, s0
	v_cndmask_b32_e64 v16, v19, v16, s0
	v_xor_b32_e32 v3, v3, v17
	v_xor_b32_e32 v18, v16, v17
	v_sub_co_u32 v16, vcc_lo, v3, v17
	v_sub_co_ci_u32_e64 v17, null, v18, v17, vcc_lo
                                        ; implicit-def: $vgpr18
.LBB6_33:                               ;   in Loop: Header=BB6_4 Depth=1
	s_andn2_saveexec_b32 s0, s35
	s_cbranch_execz .LBB6_35
; %bb.34:                               ;   in Loop: Header=BB6_4 Depth=1
	v_cvt_f32_u32_e32 v3, s40
	s_sub_i32 s2, 0, s40
	v_rcp_iflag_f32_e32 v3, v3
	v_mul_f32_e32 v3, 0x4f7ffffe, v3
	v_cvt_u32_f32_e32 v3, v3
	v_mul_lo_u32 v16, s2, v3
	v_mul_hi_u32 v16, v3, v16
	v_add_nc_u32_e32 v3, v3, v16
	v_mul_hi_u32 v3, v18, v3
	v_mul_lo_u32 v16, v3, s40
	v_add_nc_u32_e32 v17, 1, v3
	v_sub_nc_u32_e32 v16, v18, v16
	v_subrev_nc_u32_e32 v18, s40, v16
	v_cmp_le_u32_e32 vcc_lo, s40, v16
	v_cndmask_b32_e32 v16, v16, v18, vcc_lo
	v_cndmask_b32_e32 v3, v3, v17, vcc_lo
	v_cmp_le_u32_e32 vcc_lo, s40, v16
	v_add_nc_u32_e32 v17, 1, v3
	v_cndmask_b32_e32 v16, v3, v17, vcc_lo
	v_mov_b32_e32 v17, v2
.LBB6_35:                               ;   in Loop: Header=BB6_4 Depth=1
	s_or_b32 exec_lo, exec_lo, s0
	v_add_co_u32 v16, vcc_lo, v16, 1
	v_add_co_ci_u32_e64 v17, null, 0, v17, vcc_lo
.LBB6_36:                               ;   in Loop: Header=BB6_4 Depth=1
	s_or_b32 exec_lo, exec_lo, s1
	v_or_b32_e32 v3, s41, v11
                                        ; implicit-def: $vgpr18_vgpr19
	s_mov_b32 s0, exec_lo
	v_cmpx_ne_u64_e32 0, v[2:3]
	s_xor_b32 s1, exec_lo, s0
	s_cbranch_execz .LBB6_38
; %bb.37:                               ;   in Loop: Header=BB6_4 Depth=1
	s_ashr_i32 s2, s41, 31
	v_ashrrev_i32_e32 v26, 31, v11
	s_add_u32 s52, s40, s2
	s_mov_b32 s3, s2
	s_addc_u32 s53, s41, s2
	s_xor_b64 s[52:53], s[52:53], s[2:3]
	v_add_co_u32 v19, vcc_lo, v10, v26
	v_cvt_f32_u32_e32 v3, s52
	v_cvt_f32_u32_e32 v18, s53
	s_sub_u32 s35, 0, s52
	s_subb_u32 s54, 0, s53
	v_add_co_ci_u32_e64 v22, null, v11, v26, vcc_lo
	v_fmac_f32_e32 v3, 0x4f800000, v18
	v_xor_b32_e32 v27, v22, v26
	v_rcp_f32_e32 v3, v3
	v_mul_f32_e32 v3, 0x5f7ffffc, v3
	v_mul_f32_e32 v18, 0x2f800000, v3
	v_trunc_f32_e32 v18, v18
	v_fmac_f32_e32 v3, 0xcf800000, v18
	v_cvt_u32_f32_e32 v18, v18
	v_cvt_u32_f32_e32 v3, v3
	v_readfirstlane_b32 s0, v18
	v_readfirstlane_b32 s3, v3
	s_mul_i32 s55, s35, s0
	v_xor_b32_e32 v3, v19, v26
	s_mul_hi_u32 s60, s35, s3
	s_mul_i32 s59, s54, s3
	s_add_i32 s55, s60, s55
	s_mul_i32 s61, s35, s3
	s_add_i32 s55, s55, s59
	s_mul_hi_u32 s60, s3, s61
	s_mul_i32 s63, s3, s55
	s_mul_hi_u32 s62, s0, s61
	s_mul_i32 s59, s0, s61
	s_mul_hi_u32 s61, s3, s55
	s_add_u32 s60, s60, s63
	s_addc_u32 s61, 0, s61
	s_mul_hi_u32 s64, s0, s55
	s_add_u32 s59, s60, s59
	s_mul_i32 s55, s0, s55
	s_addc_u32 s59, s61, s62
	s_addc_u32 s60, s64, 0
	s_add_u32 s55, s59, s55
	s_addc_u32 s59, 0, s60
	s_add_u32 s3, s3, s55
	s_cselect_b32 s55, -1, 0
	s_mul_hi_u32 s60, s35, s3
	s_cmp_lg_u32 s55, 0
	s_mul_i32 s55, s35, s3
	s_addc_u32 s0, s0, s59
	s_mul_i32 s54, s54, s3
	s_mul_i32 s35, s35, s0
	s_mul_hi_u32 s59, s3, s55
	s_add_i32 s35, s60, s35
	s_mul_hi_u32 s60, s0, s55
	s_add_i32 s35, s35, s54
	s_mul_i32 s54, s0, s55
	s_mul_i32 s62, s3, s35
	s_mul_hi_u32 s61, s3, s35
	s_add_u32 s59, s59, s62
	s_addc_u32 s61, 0, s61
	s_mul_hi_u32 s55, s0, s35
	s_add_u32 s54, s59, s54
	s_mul_i32 s35, s0, s35
	s_addc_u32 s54, s61, s60
	s_addc_u32 s55, s55, 0
	s_add_u32 s35, s54, s35
	s_addc_u32 s54, 0, s55
	s_add_u32 s3, s3, s35
	s_cselect_b32 s35, -1, 0
	v_mul_hi_u32 v28, v3, s3
	s_cmp_lg_u32 s35, 0
	v_mad_u64_u32 v[22:23], null, v27, s3, 0
	s_addc_u32 s0, s0, s54
	v_mad_u64_u32 v[18:19], null, v3, s0, 0
	v_mad_u64_u32 v[24:25], null, v27, s0, 0
	v_add_co_u32 v18, vcc_lo, v28, v18
	v_add_co_ci_u32_e64 v19, null, 0, v19, vcc_lo
	v_add_co_u32 v18, vcc_lo, v18, v22
	v_add_co_ci_u32_e32 v18, vcc_lo, v19, v23, vcc_lo
	v_add_co_ci_u32_e32 v19, vcc_lo, 0, v25, vcc_lo
	v_add_co_u32 v22, vcc_lo, v18, v24
	v_add_co_ci_u32_e64 v23, null, 0, v19, vcc_lo
	v_mul_lo_u32 v24, s53, v22
	v_mad_u64_u32 v[18:19], null, s52, v22, 0
	v_mul_lo_u32 v25, s52, v23
	v_sub_co_u32 v3, vcc_lo, v3, v18
	v_add3_u32 v19, v19, v25, v24
	v_sub_nc_u32_e32 v24, v27, v19
	v_sub_co_ci_u32_e64 v19, null, v27, v19, vcc_lo
	v_subrev_co_ci_u32_e64 v18, null, s53, v24, vcc_lo
	v_add_co_u32 v24, s0, v22, 2
	v_add_co_ci_u32_e64 v25, null, 0, v23, s0
	v_sub_co_u32 v28, s0, v3, s52
	v_subrev_co_ci_u32_e64 v18, null, 0, v18, s0
	v_cmp_le_u32_e32 vcc_lo, s52, v28
	v_cndmask_b32_e64 v27, 0, -1, vcc_lo
	v_cmp_le_u32_e32 vcc_lo, s53, v18
	v_cndmask_b32_e64 v28, 0, -1, vcc_lo
	;; [unrolled: 2-line block ×4, first 2 shown]
	v_cmp_eq_u32_e32 vcc_lo, s53, v18
	v_cndmask_b32_e32 v18, v28, v27, vcc_lo
	v_add_co_u32 v27, vcc_lo, v22, 1
	v_add_co_ci_u32_e64 v28, null, 0, v23, vcc_lo
	v_cmp_eq_u32_e32 vcc_lo, s53, v19
	v_xor_b32_e32 v19, s2, v26
	v_cndmask_b32_e32 v3, v29, v3, vcc_lo
	v_cmp_ne_u32_e32 vcc_lo, 0, v18
	v_cmp_ne_u32_e64 s0, 0, v3
	v_cndmask_b32_e32 v3, v27, v24, vcc_lo
	v_cndmask_b32_e32 v18, v28, v25, vcc_lo
	v_cndmask_b32_e64 v3, v22, v3, s0
	v_cndmask_b32_e64 v18, v23, v18, s0
	v_xor_b32_e32 v3, v3, v19
	v_xor_b32_e32 v22, v18, v19
	v_sub_co_u32 v18, vcc_lo, v3, v19
	v_sub_co_ci_u32_e64 v19, null, v22, v19, vcc_lo
.LBB6_38:                               ;   in Loop: Header=BB6_4 Depth=1
	s_andn2_saveexec_b32 s0, s1
	s_cbranch_execz .LBB6_40
; %bb.39:                               ;   in Loop: Header=BB6_4 Depth=1
	v_cvt_f32_u32_e32 v3, s40
	s_sub_i32 s1, 0, s40
	v_rcp_iflag_f32_e32 v3, v3
	v_mul_f32_e32 v3, 0x4f7ffffe, v3
	v_cvt_u32_f32_e32 v3, v3
	v_mul_lo_u32 v18, s1, v3
	v_mul_hi_u32 v18, v3, v18
	v_add_nc_u32_e32 v3, v3, v18
	v_mul_hi_u32 v3, v10, v3
	v_mul_lo_u32 v18, v3, s40
	v_add_nc_u32_e32 v19, 1, v3
	v_sub_nc_u32_e32 v18, v10, v18
	v_subrev_nc_u32_e32 v22, s40, v18
	v_cmp_le_u32_e32 vcc_lo, s40, v18
	v_cndmask_b32_e32 v18, v18, v22, vcc_lo
	v_cndmask_b32_e32 v3, v3, v19, vcc_lo
	v_cmp_le_u32_e32 vcc_lo, s40, v18
	v_add_nc_u32_e32 v19, 1, v3
	v_cndmask_b32_e32 v18, v3, v19, vcc_lo
	v_mov_b32_e32 v19, v2
.LBB6_40:                               ;   in Loop: Header=BB6_4 Depth=1
	s_or_b32 exec_lo, exec_lo, s0
	v_add_co_u32 v18, vcc_lo, v18, 1
	v_add_co_ci_u32_e64 v19, null, 0, v19, vcc_lo
	s_mov_b32 s1, 0
	s_mov_b32 s35, exec_lo
	v_cmp_gt_i64_e32 vcc_lo, s[48:49], v[18:19]
	v_cndmask_b32_e32 v19, s49, v19, vcc_lo
	v_cndmask_b32_e32 v18, s48, v18, vcc_lo
	v_cmpx_lt_i64_e64 v[16:17], v[18:19]
	s_cbranch_execz .LBB6_3
; %bb.41:                               ;   in Loop: Header=BB6_4 Depth=1
	v_add_co_u32 v22, vcc_lo, v20, 1
	v_add_co_ci_u32_e64 v23, null, 0, v21, vcc_lo
	v_mul_lo_u32 v27, s43, v8
	v_mul_lo_u32 v28, s42, v9
	v_mad_u64_u32 v[24:25], null, s42, v8, 0
	v_cmp_gt_i64_e32 vcc_lo, s[50:51], v[22:23]
	v_mad_u64_u32 v[20:21], null, v4, s12, s[10:11]
	v_mul_lo_u32 v3, v4, s13
	v_mul_lo_u32 v26, v5, s12
	s_mov_b32 s62, 0
	v_cndmask_b32_e32 v23, s51, v23, vcc_lo
	v_cndmask_b32_e32 v22, s50, v22, vcc_lo
	v_add_co_u32 v29, vcc_lo, s38, v0
	v_add_co_ci_u32_e64 v33, null, s39, v1, vcc_lo
	v_add3_u32 v25, v25, v28, v27
	v_sub_co_u32 v24, vcc_lo, v29, v24
	v_add3_u32 v21, v26, v21, v3
	v_mul_lo_u32 v3, v13, s20
	v_sub_co_ci_u32_e64 v25, null, v33, v25, vcc_lo
	v_mul_lo_u32 v26, v12, s21
	v_mad_u64_u32 v[12:13], null, v12, s20, 0
	v_sub_co_u32 v14, vcc_lo, v24, v14
	v_sub_co_ci_u32_e64 v15, null, v25, v15, vcc_lo
	v_cmp_lt_i64_e64 s0, v[8:9], v[22:23]
	v_sub_co_u32 v6, vcc_lo, v14, v6
	v_add3_u32 v13, v13, v26, v3
	v_sub_co_ci_u32_e64 v7, null, v15, v7, vcc_lo
	s_mov_b32 s59, 0
                                        ; implicit-def: $sgpr60
                                        ; implicit-def: $sgpr61
	s_branch .LBB6_44
.LBB6_42:                               ;   in Loop: Header=BB6_44 Depth=2
	s_or_b32 exec_lo, exec_lo, s3
	s_andn2_b32 s1, s61, exec_lo
	s_and_b32 s2, s64, exec_lo
	s_or_b32 s61, s1, s2
.LBB6_43:                               ;   in Loop: Header=BB6_44 Depth=2
	s_or_b32 exec_lo, exec_lo, s63
	v_add_co_u32 v16, vcc_lo, v16, 1
	v_add_co_ci_u32_e64 v17, null, 0, v17, vcc_lo
	s_mov_b32 s62, s61
	v_cmp_ge_i64_e32 vcc_lo, v[16:17], v[18:19]
	s_or_b32 s59, vcc_lo, s59
	s_andn2_b32 s1, s60, exec_lo
	s_and_b32 s2, s61, exec_lo
	s_or_b32 s60, s1, s2
	s_andn2_b32 exec_lo, exec_lo, s59
	s_cbranch_execz .LBB6_2
.LBB6_44:                               ;   Parent Loop BB6_4 Depth=1
                                        ; =>  This Loop Header: Depth=2
                                        ;       Child Loop BB6_52 Depth 3
	s_andn2_b32 s1, s61, exec_lo
	s_and_b32 s2, s62, exec_lo
	s_or_b32 s61, s1, s2
	s_and_saveexec_b32 s63, s0
	s_cbranch_execz .LBB6_43
; %bb.45:                               ;   in Loop: Header=BB6_44 Depth=2
	v_mul_lo_u32 v3, v17, s40
	v_mul_lo_u32 v24, v16, s41
	v_mad_u64_u32 v[14:15], null, v16, s40, 0
	s_mov_b32 s1, exec_lo
	v_add3_u32 v3, v15, v24, v3
	v_sub_co_u32 v24, vcc_lo, v10, v14
                                        ; implicit-def: $vgpr14_vgpr15
	v_sub_co_ci_u32_e64 v25, null, v11, v3, vcc_lo
	v_or_b32_e32 v3, s45, v25
	v_cmpx_ne_u64_e32 0, v[2:3]
	s_xor_b32 s54, exec_lo, s1
	s_cbranch_execz .LBB6_47
; %bb.46:                               ;   in Loop: Header=BB6_44 Depth=2
	s_ashr_i32 s2, s45, 31
	v_ashrrev_i32_e32 v33, 31, v25
	s_add_u32 s52, s44, s2
	s_mov_b32 s3, s2
	s_addc_u32 s53, s45, s2
	s_xor_b64 s[52:53], s[52:53], s[2:3]
	v_add_co_u32 v15, vcc_lo, v24, v33
	v_cvt_f32_u32_e32 v3, s52
	v_cvt_f32_u32_e32 v14, s53
	s_sub_u32 s55, 0, s52
	s_subb_u32 s64, 0, s53
	v_add_co_ci_u32_e64 v26, null, v25, v33, vcc_lo
	v_fmac_f32_e32 v3, 0x4f800000, v14
	v_xor_b32_e32 v34, v26, v33
	v_rcp_f32_e32 v3, v3
	v_mul_f32_e32 v3, 0x5f7ffffc, v3
	v_mul_f32_e32 v14, 0x2f800000, v3
	v_trunc_f32_e32 v14, v14
	v_fmac_f32_e32 v3, 0xcf800000, v14
	v_cvt_u32_f32_e32 v14, v14
	v_cvt_u32_f32_e32 v3, v3
	v_readfirstlane_b32 s1, v14
	v_readfirstlane_b32 s3, v3
	s_mul_i32 s65, s55, s1
	v_xor_b32_e32 v3, v15, v33
	s_mul_hi_u32 s67, s55, s3
	s_mul_i32 s66, s64, s3
	s_add_i32 s65, s67, s65
	s_mul_i32 s68, s55, s3
	s_add_i32 s65, s65, s66
	s_mul_hi_u32 s67, s3, s68
	s_mul_i32 s70, s3, s65
	s_mul_hi_u32 s69, s1, s68
	s_mul_i32 s66, s1, s68
	s_mul_hi_u32 s68, s3, s65
	s_add_u32 s67, s67, s70
	s_addc_u32 s68, 0, s68
	s_mul_hi_u32 s71, s1, s65
	s_add_u32 s66, s67, s66
	s_mul_i32 s65, s1, s65
	s_addc_u32 s66, s68, s69
	s_addc_u32 s67, s71, 0
	s_add_u32 s65, s66, s65
	s_addc_u32 s66, 0, s67
	s_add_u32 s3, s3, s65
	s_cselect_b32 s65, -1, 0
	s_mul_hi_u32 s67, s55, s3
	s_cmp_lg_u32 s65, 0
	s_mul_i32 s65, s55, s3
	s_addc_u32 s1, s1, s66
	s_mul_i32 s64, s64, s3
	s_mul_i32 s55, s55, s1
	s_mul_hi_u32 s66, s3, s65
	s_add_i32 s55, s67, s55
	s_mul_hi_u32 s67, s1, s65
	s_add_i32 s55, s55, s64
	s_mul_i32 s64, s1, s65
	s_mul_i32 s69, s3, s55
	s_mul_hi_u32 s68, s3, s55
	s_add_u32 s66, s66, s69
	s_addc_u32 s68, 0, s68
	s_mul_hi_u32 s65, s1, s55
	s_add_u32 s64, s66, s64
	s_mul_i32 s55, s1, s55
	s_addc_u32 s64, s68, s67
	s_addc_u32 s65, s65, 0
	s_add_u32 s55, s64, s55
	s_addc_u32 s64, 0, s65
	s_add_u32 s3, s3, s55
	s_cselect_b32 s55, -1, 0
	v_mul_hi_u32 v35, v3, s3
	s_cmp_lg_u32 s55, 0
	v_mad_u64_u32 v[26:27], null, v34, s3, 0
	s_addc_u32 s1, s1, s64
	v_mad_u64_u32 v[14:15], null, v3, s1, 0
	v_mad_u64_u32 v[28:29], null, v34, s1, 0
	v_add_co_u32 v14, vcc_lo, v35, v14
	v_add_co_ci_u32_e64 v15, null, 0, v15, vcc_lo
	v_add_co_u32 v14, vcc_lo, v14, v26
	v_add_co_ci_u32_e32 v14, vcc_lo, v15, v27, vcc_lo
	v_add_co_ci_u32_e32 v15, vcc_lo, 0, v29, vcc_lo
	v_add_co_u32 v26, vcc_lo, v14, v28
	v_add_co_ci_u32_e64 v27, null, 0, v15, vcc_lo
	v_mul_lo_u32 v28, s53, v26
	v_mad_u64_u32 v[14:15], null, s52, v26, 0
	v_mul_lo_u32 v29, s52, v27
	v_sub_co_u32 v3, vcc_lo, v3, v14
	v_add3_u32 v15, v15, v29, v28
	v_sub_nc_u32_e32 v28, v34, v15
	v_sub_co_ci_u32_e64 v15, null, v34, v15, vcc_lo
	v_subrev_co_ci_u32_e64 v14, null, s53, v28, vcc_lo
	v_add_co_u32 v28, s1, v26, 2
	v_add_co_ci_u32_e64 v29, null, 0, v27, s1
	v_sub_co_u32 v35, s1, v3, s52
	v_subrev_co_ci_u32_e64 v14, null, 0, v14, s1
	v_cmp_le_u32_e32 vcc_lo, s52, v35
	v_cndmask_b32_e64 v34, 0, -1, vcc_lo
	v_cmp_le_u32_e32 vcc_lo, s53, v14
	v_cndmask_b32_e64 v35, 0, -1, vcc_lo
	;; [unrolled: 2-line block ×4, first 2 shown]
	v_cmp_eq_u32_e32 vcc_lo, s53, v14
	v_cndmask_b32_e32 v14, v35, v34, vcc_lo
	v_add_co_u32 v34, vcc_lo, v26, 1
	v_add_co_ci_u32_e64 v35, null, 0, v27, vcc_lo
	v_cmp_eq_u32_e32 vcc_lo, s53, v15
	v_xor_b32_e32 v15, s2, v33
	v_cndmask_b32_e32 v3, v36, v3, vcc_lo
	v_cmp_ne_u32_e32 vcc_lo, 0, v14
	v_cmp_ne_u32_e64 s1, 0, v3
	v_cndmask_b32_e32 v3, v34, v28, vcc_lo
	v_cndmask_b32_e32 v14, v35, v29, vcc_lo
	v_cndmask_b32_e64 v3, v26, v3, s1
	v_cndmask_b32_e64 v14, v27, v14, s1
	v_xor_b32_e32 v3, v3, v15
	v_xor_b32_e32 v26, v14, v15
	v_sub_co_u32 v14, vcc_lo, v3, v15
	v_sub_co_ci_u32_e64 v15, null, v26, v15, vcc_lo
.LBB6_47:                               ;   in Loop: Header=BB6_44 Depth=2
	s_andn2_saveexec_b32 s1, s54
	s_cbranch_execz .LBB6_49
; %bb.48:                               ;   in Loop: Header=BB6_44 Depth=2
	v_cvt_f32_u32_e32 v3, s44
	s_sub_i32 s2, 0, s44
	v_rcp_iflag_f32_e32 v3, v3
	v_mul_f32_e32 v3, 0x4f7ffffe, v3
	v_cvt_u32_f32_e32 v3, v3
	v_mul_lo_u32 v14, s2, v3
	v_mul_hi_u32 v14, v3, v14
	v_add_nc_u32_e32 v3, v3, v14
	v_mul_hi_u32 v3, v24, v3
	v_mul_lo_u32 v14, v3, s44
	v_add_nc_u32_e32 v15, 1, v3
	v_sub_nc_u32_e32 v14, v24, v14
	v_subrev_nc_u32_e32 v26, s44, v14
	v_cmp_le_u32_e32 vcc_lo, s44, v14
	v_cndmask_b32_e32 v14, v14, v26, vcc_lo
	v_cndmask_b32_e32 v3, v3, v15, vcc_lo
	v_cmp_le_u32_e32 vcc_lo, s44, v14
	v_add_nc_u32_e32 v15, 1, v3
	v_cndmask_b32_e32 v14, v3, v15, vcc_lo
	v_mov_b32_e32 v15, v2
.LBB6_49:                               ;   in Loop: Header=BB6_44 Depth=2
	s_or_b32 exec_lo, exec_lo, s1
	v_mul_lo_u32 v3, v15, s44
	v_mul_lo_u32 v28, v14, s45
	v_mad_u64_u32 v[26:27], null, v14, s44, 0
	v_add_co_u32 v14, vcc_lo, v14, v12
	v_add_co_ci_u32_e64 v15, null, v15, v13, vcc_lo
	s_mov_b32 s3, 0
                                        ; implicit-def: $sgpr64
	v_add3_u32 v3, v27, v28, v3
	v_mul_lo_u32 v27, v15, s22
	v_mul_lo_u32 v28, v14, s23
	v_mad_u64_u32 v[14:15], null, v14, s22, 0
	v_sub_co_u32 v24, vcc_lo, v24, v26
	v_sub_co_ci_u32_e64 v25, null, v25, v3, vcc_lo
	v_add3_u32 v15, v15, v28, v27
	v_cmp_eq_u64_e64 s1, 0, v[24:25]
	v_mov_b32_e32 v25, v7
	v_mov_b32_e32 v27, v9
	;; [unrolled: 1-line block ×4, first 2 shown]
	s_branch .LBB6_52
.LBB6_50:                               ;   in Loop: Header=BB6_52 Depth=3
	s_or_b32 exec_lo, exec_lo, s2
	s_andn2_b32 s2, s62, exec_lo
	s_and_b32 s52, s52, exec_lo
	s_or_b32 s62, s2, s52
.LBB6_51:                               ;   in Loop: Header=BB6_52 Depth=3
	s_or_b32 exec_lo, exec_lo, s65
	v_add_co_u32 v26, vcc_lo, v26, 1
	v_add_co_ci_u32_e64 v27, null, 0, v27, vcc_lo
	v_sub_co_u32 v24, s2, v24, s42
	v_subrev_co_ci_u32_e64 v25, null, s43, v25, s2
	v_cmp_ge_i64_e32 vcc_lo, v[26:27], v[22:23]
	s_or_b32 s3, vcc_lo, s3
	s_andn2_b32 s2, s64, exec_lo
	s_and_b32 s52, s62, exec_lo
	s_or_b32 s64, s2, s52
	s_andn2_b32 exec_lo, exec_lo, s3
	s_cbranch_execz .LBB6_42
.LBB6_52:                               ;   Parent Loop BB6_4 Depth=1
                                        ;     Parent Loop BB6_44 Depth=2
                                        ; =>    This Inner Loop Header: Depth=3
	s_and_saveexec_b32 s65, s1
	s_cbranch_execz .LBB6_51
; %bb.53:                               ;   in Loop: Header=BB6_52 Depth=3
	v_or_b32_e32 v3, s47, v25
                                        ; implicit-def: $vgpr28_vgpr29
	s_mov_b32 s2, exec_lo
	v_cmpx_ne_u64_e32 0, v[2:3]
	s_xor_b32 s66, exec_lo, s2
	s_cbranch_execz .LBB6_55
; %bb.54:                               ;   in Loop: Header=BB6_52 Depth=3
	s_ashr_i32 s52, s47, 31
	v_ashrrev_i32_e32 v37, 31, v25
	s_add_u32 s54, s46, s52
	s_mov_b32 s53, s52
	s_addc_u32 s55, s47, s52
	s_xor_b64 s[54:55], s[54:55], s[52:53]
	v_add_co_u32 v29, vcc_lo, v24, v37
	v_cvt_f32_u32_e32 v3, s54
	v_cvt_f32_u32_e32 v28, s55
	s_sub_u32 s67, 0, s54
	s_subb_u32 s68, 0, s55
	v_add_co_ci_u32_e64 v33, null, v25, v37, vcc_lo
	v_fmac_f32_e32 v3, 0x4f800000, v28
	v_xor_b32_e32 v38, v33, v37
	v_rcp_f32_e32 v3, v3
	v_mul_f32_e32 v3, 0x5f7ffffc, v3
	v_mul_f32_e32 v28, 0x2f800000, v3
	v_trunc_f32_e32 v28, v28
	v_fmac_f32_e32 v3, 0xcf800000, v28
	v_cvt_u32_f32_e32 v28, v28
	v_cvt_u32_f32_e32 v3, v3
	v_readfirstlane_b32 s2, v28
	v_readfirstlane_b32 s53, v3
	s_mul_i32 s69, s67, s2
	v_xor_b32_e32 v3, v29, v37
	s_mul_hi_u32 s71, s67, s53
	s_mul_i32 s70, s68, s53
	s_add_i32 s69, s71, s69
	s_mul_i32 s72, s67, s53
	s_add_i32 s69, s69, s70
	s_mul_hi_u32 s71, s53, s72
	s_mul_i32 s74, s53, s69
	s_mul_hi_u32 s73, s2, s72
	s_mul_i32 s70, s2, s72
	s_mul_hi_u32 s72, s53, s69
	s_add_u32 s71, s71, s74
	s_addc_u32 s72, 0, s72
	s_mul_hi_u32 s75, s2, s69
	s_add_u32 s70, s71, s70
	s_mul_i32 s69, s2, s69
	s_addc_u32 s70, s72, s73
	s_addc_u32 s71, s75, 0
	s_add_u32 s69, s70, s69
	s_addc_u32 s70, 0, s71
	s_add_u32 s53, s53, s69
	s_cselect_b32 s69, -1, 0
	s_mul_hi_u32 s71, s67, s53
	s_cmp_lg_u32 s69, 0
	s_mul_i32 s69, s67, s53
	s_addc_u32 s2, s2, s70
	s_mul_i32 s68, s68, s53
	s_mul_i32 s67, s67, s2
	s_mul_hi_u32 s70, s53, s69
	s_add_i32 s67, s71, s67
	s_mul_hi_u32 s71, s2, s69
	s_add_i32 s67, s67, s68
	s_mul_i32 s68, s2, s69
	s_mul_i32 s73, s53, s67
	s_mul_hi_u32 s72, s53, s67
	s_add_u32 s70, s70, s73
	s_addc_u32 s72, 0, s72
	s_mul_hi_u32 s69, s2, s67
	s_add_u32 s68, s70, s68
	s_mul_i32 s67, s2, s67
	s_addc_u32 s68, s72, s71
	s_addc_u32 s69, s69, 0
	s_add_u32 s67, s68, s67
	s_addc_u32 s68, 0, s69
	s_add_u32 s53, s53, s67
	s_cselect_b32 s67, -1, 0
	v_mul_hi_u32 v39, v3, s53
	s_cmp_lg_u32 s67, 0
	v_mad_u64_u32 v[33:34], null, v38, s53, 0
	s_addc_u32 s2, s2, s68
	v_mad_u64_u32 v[28:29], null, v3, s2, 0
	v_mad_u64_u32 v[35:36], null, v38, s2, 0
	v_add_co_u32 v28, vcc_lo, v39, v28
	v_add_co_ci_u32_e64 v29, null, 0, v29, vcc_lo
	v_add_co_u32 v28, vcc_lo, v28, v33
	v_add_co_ci_u32_e32 v28, vcc_lo, v29, v34, vcc_lo
	v_add_co_ci_u32_e32 v29, vcc_lo, 0, v36, vcc_lo
	v_add_co_u32 v33, vcc_lo, v28, v35
	v_add_co_ci_u32_e64 v34, null, 0, v29, vcc_lo
	v_mul_lo_u32 v35, s55, v33
	v_mad_u64_u32 v[28:29], null, s54, v33, 0
	v_mul_lo_u32 v36, s54, v34
	v_sub_co_u32 v3, vcc_lo, v3, v28
	v_add3_u32 v29, v29, v36, v35
	v_sub_nc_u32_e32 v35, v38, v29
	v_sub_co_ci_u32_e64 v29, null, v38, v29, vcc_lo
	v_subrev_co_ci_u32_e64 v28, null, s55, v35, vcc_lo
	v_add_co_u32 v35, s2, v33, 2
	v_add_co_ci_u32_e64 v36, null, 0, v34, s2
	v_sub_co_u32 v39, s2, v3, s54
	v_subrev_co_ci_u32_e64 v28, null, 0, v28, s2
	v_cmp_le_u32_e32 vcc_lo, s54, v39
	v_cndmask_b32_e64 v38, 0, -1, vcc_lo
	v_cmp_le_u32_e32 vcc_lo, s55, v28
	v_cndmask_b32_e64 v39, 0, -1, vcc_lo
	;; [unrolled: 2-line block ×4, first 2 shown]
	v_cmp_eq_u32_e32 vcc_lo, s55, v28
	v_cndmask_b32_e32 v28, v39, v38, vcc_lo
	v_add_co_u32 v38, vcc_lo, v33, 1
	v_add_co_ci_u32_e64 v39, null, 0, v34, vcc_lo
	v_cmp_eq_u32_e32 vcc_lo, s55, v29
	v_xor_b32_e32 v29, s52, v37
	v_cndmask_b32_e32 v3, v40, v3, vcc_lo
	v_cmp_ne_u32_e32 vcc_lo, 0, v28
	v_cmp_ne_u32_e64 s2, 0, v3
	v_cndmask_b32_e32 v3, v38, v35, vcc_lo
	v_cndmask_b32_e32 v28, v39, v36, vcc_lo
	v_cndmask_b32_e64 v3, v33, v3, s2
	v_cndmask_b32_e64 v28, v34, v28, s2
	v_xor_b32_e32 v3, v3, v29
	v_xor_b32_e32 v33, v28, v29
	v_sub_co_u32 v28, vcc_lo, v3, v29
	v_sub_co_ci_u32_e64 v29, null, v33, v29, vcc_lo
.LBB6_55:                               ;   in Loop: Header=BB6_52 Depth=3
	s_andn2_saveexec_b32 s2, s66
	s_cbranch_execz .LBB6_57
; %bb.56:                               ;   in Loop: Header=BB6_52 Depth=3
	v_cvt_f32_u32_e32 v3, s46
	s_sub_i32 s52, 0, s46
	v_rcp_iflag_f32_e32 v3, v3
	v_mul_f32_e32 v3, 0x4f7ffffe, v3
	v_cvt_u32_f32_e32 v3, v3
	v_mul_lo_u32 v28, s52, v3
	v_mul_hi_u32 v28, v3, v28
	v_add_nc_u32_e32 v3, v3, v28
	v_mul_hi_u32 v3, v24, v3
	v_mul_lo_u32 v28, v3, s46
	v_add_nc_u32_e32 v29, 1, v3
	v_sub_nc_u32_e32 v28, v24, v28
	v_subrev_nc_u32_e32 v33, s46, v28
	v_cmp_le_u32_e32 vcc_lo, s46, v28
	v_cndmask_b32_e32 v28, v28, v33, vcc_lo
	v_cndmask_b32_e32 v3, v3, v29, vcc_lo
	v_cmp_le_u32_e32 vcc_lo, s46, v28
	v_add_nc_u32_e32 v29, 1, v3
	v_cndmask_b32_e32 v28, v3, v29, vcc_lo
	v_mov_b32_e32 v29, v2
.LBB6_57:                               ;   in Loop: Header=BB6_52 Depth=3
	s_or_b32 exec_lo, exec_lo, s2
	v_mul_lo_u32 v3, v29, s46
	v_mul_lo_u32 v35, v28, s47
	v_mad_u64_u32 v[33:34], null, v28, s46, 0
	s_mov_b32 s52, s62
	s_mov_b32 s2, exec_lo
	v_add3_u32 v3, v34, v35, v3
	v_sub_co_u32 v33, vcc_lo, v24, v33
	v_sub_co_ci_u32_e64 v34, null, v25, v3, vcc_lo
	v_cmpx_eq_u64_e32 0, v[33:34]
	s_cbranch_execz .LBB6_50
; %bb.58:                               ;   in Loop: Header=BB6_52 Depth=3
	v_add_co_u32 v3, vcc_lo, v14, v28
	v_add_co_ci_u32_e64 v28, null, v15, v29, vcc_lo
	s_andn2_b32 s52, s62, exec_lo
	v_mul_lo_u32 v33, v3, s49
	v_mul_lo_u32 v34, v28, s48
	v_mad_u64_u32 v[28:29], null, v3, s48, v[16:17]
	v_add3_u32 v3, v34, v29, v33
	v_mul_lo_u32 v33, s51, v28
	v_mad_u64_u32 v[28:29], null, s50, v28, v[26:27]
	v_mul_lo_u32 v3, s50, v3
	v_add_co_u32 v28, vcc_lo, v20, v28
	v_add3_u32 v3, v33, v29, v3
	v_add_co_ci_u32_e64 v29, null, v21, v3, vcc_lo
	global_load_ubyte v3, v[28:29], off
	v_cndmask_b32_e64 v28, 0, 1, s62
	s_waitcnt vmcnt(0)
	v_or_b32_e32 v3, v3, v28
	v_cmp_ne_u16_e32 vcc_lo, 0, v3
	s_and_b32 s53, vcc_lo, exec_lo
	s_or_b32 s52, s52, s53
	s_branch .LBB6_50
.LBB6_59:
	s_endpgm
	.section	.rodata,"a",@progbits
	.p2align	6, 0x0
	.amdhsa_kernel _ZN2at6native21col2im_batched_kernelIbEEvlPKT_llllllllllllllPS2_l
		.amdhsa_group_segment_fixed_size 0
		.amdhsa_private_segment_fixed_size 0
		.amdhsa_kernarg_size 400
		.amdhsa_user_sgpr_count 6
		.amdhsa_user_sgpr_private_segment_buffer 1
		.amdhsa_user_sgpr_dispatch_ptr 0
		.amdhsa_user_sgpr_queue_ptr 0
		.amdhsa_user_sgpr_kernarg_segment_ptr 1
		.amdhsa_user_sgpr_dispatch_id 0
		.amdhsa_user_sgpr_flat_scratch_init 0
		.amdhsa_user_sgpr_private_segment_size 0
		.amdhsa_wavefront_size32 1
		.amdhsa_uses_dynamic_stack 0
		.amdhsa_system_sgpr_private_segment_wavefront_offset 0
		.amdhsa_system_sgpr_workgroup_id_x 1
		.amdhsa_system_sgpr_workgroup_id_y 0
		.amdhsa_system_sgpr_workgroup_id_z 0
		.amdhsa_system_sgpr_workgroup_info 0
		.amdhsa_system_vgpr_workitem_id 0
		.amdhsa_next_free_vgpr 41
		.amdhsa_next_free_sgpr 76
		.amdhsa_reserve_vcc 1
		.amdhsa_reserve_flat_scratch 0
		.amdhsa_float_round_mode_32 0
		.amdhsa_float_round_mode_16_64 0
		.amdhsa_float_denorm_mode_32 3
		.amdhsa_float_denorm_mode_16_64 3
		.amdhsa_dx10_clamp 1
		.amdhsa_ieee_mode 1
		.amdhsa_fp16_overflow 0
		.amdhsa_workgroup_processor_mode 1
		.amdhsa_memory_ordered 1
		.amdhsa_forward_progress 1
		.amdhsa_shared_vgpr_count 0
		.amdhsa_exception_fp_ieee_invalid_op 0
		.amdhsa_exception_fp_denorm_src 0
		.amdhsa_exception_fp_ieee_div_zero 0
		.amdhsa_exception_fp_ieee_overflow 0
		.amdhsa_exception_fp_ieee_underflow 0
		.amdhsa_exception_fp_ieee_inexact 0
		.amdhsa_exception_int_div_zero 0
	.end_amdhsa_kernel
	.section	.text._ZN2at6native21col2im_batched_kernelIbEEvlPKT_llllllllllllllPS2_l,"axG",@progbits,_ZN2at6native21col2im_batched_kernelIbEEvlPKT_llllllllllllllPS2_l,comdat
.Lfunc_end6:
	.size	_ZN2at6native21col2im_batched_kernelIbEEvlPKT_llllllllllllllPS2_l, .Lfunc_end6-_ZN2at6native21col2im_batched_kernelIbEEvlPKT_llllllllllllllPS2_l
                                        ; -- End function
	.set _ZN2at6native21col2im_batched_kernelIbEEvlPKT_llllllllllllllPS2_l.num_vgpr, 41
	.set _ZN2at6native21col2im_batched_kernelIbEEvlPKT_llllllllllllllPS2_l.num_agpr, 0
	.set _ZN2at6native21col2im_batched_kernelIbEEvlPKT_llllllllllllllPS2_l.numbered_sgpr, 76
	.set _ZN2at6native21col2im_batched_kernelIbEEvlPKT_llllllllllllllPS2_l.num_named_barrier, 0
	.set _ZN2at6native21col2im_batched_kernelIbEEvlPKT_llllllllllllllPS2_l.private_seg_size, 0
	.set _ZN2at6native21col2im_batched_kernelIbEEvlPKT_llllllllllllllPS2_l.uses_vcc, 1
	.set _ZN2at6native21col2im_batched_kernelIbEEvlPKT_llllllllllllllPS2_l.uses_flat_scratch, 0
	.set _ZN2at6native21col2im_batched_kernelIbEEvlPKT_llllllllllllllPS2_l.has_dyn_sized_stack, 0
	.set _ZN2at6native21col2im_batched_kernelIbEEvlPKT_llllllllllllllPS2_l.has_recursion, 0
	.set _ZN2at6native21col2im_batched_kernelIbEEvlPKT_llllllllllllllPS2_l.has_indirect_call, 0
	.section	.AMDGPU.csdata,"",@progbits
; Kernel info:
; codeLenInByte = 8992
; TotalNumSgprs: 78
; NumVgprs: 41
; ScratchSize: 0
; MemoryBound: 0
; FloatMode: 240
; IeeeMode: 1
; LDSByteSize: 0 bytes/workgroup (compile time only)
; SGPRBlocks: 0
; VGPRBlocks: 5
; NumSGPRsForWavesPerEU: 78
; NumVGPRsForWavesPerEU: 41
; Occupancy: 16
; WaveLimiterHint : 0
; COMPUTE_PGM_RSRC2:SCRATCH_EN: 0
; COMPUTE_PGM_RSRC2:USER_SGPR: 6
; COMPUTE_PGM_RSRC2:TRAP_HANDLER: 0
; COMPUTE_PGM_RSRC2:TGID_X_EN: 1
; COMPUTE_PGM_RSRC2:TGID_Y_EN: 0
; COMPUTE_PGM_RSRC2:TGID_Z_EN: 0
; COMPUTE_PGM_RSRC2:TIDIG_COMP_CNT: 0
	.section	.AMDGPU.gpr_maximums,"",@progbits
	.set amdgpu.max_num_vgpr, 0
	.set amdgpu.max_num_agpr, 0
	.set amdgpu.max_num_sgpr, 0
	.section	.AMDGPU.csdata,"",@progbits
	.type	__hip_cuid_17e78e8108fe9ba9,@object ; @__hip_cuid_17e78e8108fe9ba9
	.section	.bss,"aw",@nobits
	.globl	__hip_cuid_17e78e8108fe9ba9
__hip_cuid_17e78e8108fe9ba9:
	.byte	0                               ; 0x0
	.size	__hip_cuid_17e78e8108fe9ba9, 1

	.ident	"AMD clang version 22.0.0git (https://github.com/RadeonOpenCompute/llvm-project roc-7.2.4 26084 f58b06dce1f9c15707c5f808fd002e18c2accf7e)"
	.section	".note.GNU-stack","",@progbits
	.addrsig
	.addrsig_sym __hip_cuid_17e78e8108fe9ba9
	.amdgpu_metadata
---
amdhsa.kernels:
  - .args:
      - .offset:         0
        .size:           8
        .value_kind:     by_value
      - .address_space:  global
        .offset:         8
        .size:           8
        .value_kind:     global_buffer
      - .offset:         16
        .size:           8
        .value_kind:     by_value
      - .offset:         24
        .size:           8
        .value_kind:     by_value
      - .offset:         32
        .size:           8
        .value_kind:     by_value
      - .offset:         40
        .size:           8
        .value_kind:     by_value
      - .offset:         48
        .size:           8
        .value_kind:     by_value
      - .offset:         56
        .size:           8
        .value_kind:     by_value
      - .offset:         64
        .size:           8
        .value_kind:     by_value
      - .offset:         72
        .size:           8
        .value_kind:     by_value
      - .offset:         80
        .size:           8
        .value_kind:     by_value
      - .offset:         88
        .size:           8
        .value_kind:     by_value
      - .offset:         96
        .size:           8
        .value_kind:     by_value
      - .offset:         104
        .size:           8
        .value_kind:     by_value
      - .offset:         112
        .size:           8
        .value_kind:     by_value
      - .offset:         120
        .size:           8
        .value_kind:     by_value
      - .address_space:  global
        .offset:         128
        .size:           8
        .value_kind:     global_buffer
      - .offset:         136
        .size:           8
        .value_kind:     by_value
      - .offset:         144
        .size:           4
        .value_kind:     hidden_block_count_x
      - .offset:         148
        .size:           4
        .value_kind:     hidden_block_count_y
      - .offset:         152
        .size:           4
        .value_kind:     hidden_block_count_z
      - .offset:         156
        .size:           2
        .value_kind:     hidden_group_size_x
      - .offset:         158
        .size:           2
        .value_kind:     hidden_group_size_y
      - .offset:         160
        .size:           2
        .value_kind:     hidden_group_size_z
      - .offset:         162
        .size:           2
        .value_kind:     hidden_remainder_x
      - .offset:         164
        .size:           2
        .value_kind:     hidden_remainder_y
      - .offset:         166
        .size:           2
        .value_kind:     hidden_remainder_z
      - .offset:         184
        .size:           8
        .value_kind:     hidden_global_offset_x
      - .offset:         192
        .size:           8
        .value_kind:     hidden_global_offset_y
      - .offset:         200
        .size:           8
        .value_kind:     hidden_global_offset_z
      - .offset:         208
        .size:           2
        .value_kind:     hidden_grid_dims
    .group_segment_fixed_size: 0
    .kernarg_segment_align: 8
    .kernarg_segment_size: 400
    .language:       OpenCL C
    .language_version:
      - 2
      - 0
    .max_flat_workgroup_size: 512
    .name:           _ZN2at6native21col2im_batched_kernelIdEEvlPKT_llllllllllllllPS2_l
    .private_segment_fixed_size: 0
    .sgpr_count:     76
    .sgpr_spill_count: 0
    .symbol:         _ZN2at6native21col2im_batched_kernelIdEEvlPKT_llllllllllllllPS2_l.kd
    .uniform_work_group_size: 1
    .uses_dynamic_stack: false
    .vgpr_count:     45
    .vgpr_spill_count: 0
    .wavefront_size: 32
    .workgroup_processor_mode: 1
  - .args:
      - .offset:         0
        .size:           8
        .value_kind:     by_value
      - .address_space:  global
        .offset:         8
        .size:           8
        .value_kind:     global_buffer
      - .offset:         16
        .size:           8
        .value_kind:     by_value
      - .offset:         24
        .size:           8
        .value_kind:     by_value
      - .offset:         32
        .size:           8
        .value_kind:     by_value
      - .offset:         40
        .size:           8
        .value_kind:     by_value
      - .offset:         48
        .size:           8
        .value_kind:     by_value
      - .offset:         56
        .size:           8
        .value_kind:     by_value
      - .offset:         64
        .size:           8
        .value_kind:     by_value
      - .offset:         72
        .size:           8
        .value_kind:     by_value
      - .offset:         80
        .size:           8
        .value_kind:     by_value
      - .offset:         88
        .size:           8
        .value_kind:     by_value
      - .offset:         96
        .size:           8
        .value_kind:     by_value
      - .offset:         104
        .size:           8
        .value_kind:     by_value
      - .offset:         112
        .size:           8
        .value_kind:     by_value
      - .offset:         120
        .size:           8
        .value_kind:     by_value
      - .address_space:  global
        .offset:         128
        .size:           8
        .value_kind:     global_buffer
      - .offset:         136
        .size:           8
        .value_kind:     by_value
      - .offset:         144
        .size:           4
        .value_kind:     hidden_block_count_x
      - .offset:         148
        .size:           4
        .value_kind:     hidden_block_count_y
      - .offset:         152
        .size:           4
        .value_kind:     hidden_block_count_z
      - .offset:         156
        .size:           2
        .value_kind:     hidden_group_size_x
      - .offset:         158
        .size:           2
        .value_kind:     hidden_group_size_y
      - .offset:         160
        .size:           2
        .value_kind:     hidden_group_size_z
      - .offset:         162
        .size:           2
        .value_kind:     hidden_remainder_x
      - .offset:         164
        .size:           2
        .value_kind:     hidden_remainder_y
      - .offset:         166
        .size:           2
        .value_kind:     hidden_remainder_z
      - .offset:         184
        .size:           8
        .value_kind:     hidden_global_offset_x
      - .offset:         192
        .size:           8
        .value_kind:     hidden_global_offset_y
      - .offset:         200
        .size:           8
        .value_kind:     hidden_global_offset_z
      - .offset:         208
        .size:           2
        .value_kind:     hidden_grid_dims
    .group_segment_fixed_size: 0
    .kernarg_segment_align: 8
    .kernarg_segment_size: 400
    .language:       OpenCL C
    .language_version:
      - 2
      - 0
    .max_flat_workgroup_size: 512
    .name:           _ZN2at6native21col2im_batched_kernelIfEEvlPKT_llllllllllllllPS2_l
    .private_segment_fixed_size: 0
    .sgpr_count:     76
    .sgpr_spill_count: 0
    .symbol:         _ZN2at6native21col2im_batched_kernelIfEEvlPKT_llllllllllllllPS2_l.kd
    .uniform_work_group_size: 1
    .uses_dynamic_stack: false
    .vgpr_count:     44
    .vgpr_spill_count: 0
    .wavefront_size: 32
    .workgroup_processor_mode: 1
  - .args:
      - .offset:         0
        .size:           8
        .value_kind:     by_value
      - .address_space:  global
        .offset:         8
        .size:           8
        .value_kind:     global_buffer
      - .offset:         16
        .size:           8
        .value_kind:     by_value
      - .offset:         24
        .size:           8
        .value_kind:     by_value
      - .offset:         32
        .size:           8
        .value_kind:     by_value
      - .offset:         40
        .size:           8
        .value_kind:     by_value
      - .offset:         48
        .size:           8
        .value_kind:     by_value
      - .offset:         56
        .size:           8
        .value_kind:     by_value
      - .offset:         64
        .size:           8
        .value_kind:     by_value
      - .offset:         72
        .size:           8
        .value_kind:     by_value
      - .offset:         80
        .size:           8
        .value_kind:     by_value
      - .offset:         88
        .size:           8
        .value_kind:     by_value
      - .offset:         96
        .size:           8
        .value_kind:     by_value
      - .offset:         104
        .size:           8
        .value_kind:     by_value
      - .offset:         112
        .size:           8
        .value_kind:     by_value
      - .offset:         120
        .size:           8
        .value_kind:     by_value
      - .address_space:  global
        .offset:         128
        .size:           8
        .value_kind:     global_buffer
      - .offset:         136
        .size:           8
        .value_kind:     by_value
      - .offset:         144
        .size:           4
        .value_kind:     hidden_block_count_x
      - .offset:         148
        .size:           4
        .value_kind:     hidden_block_count_y
      - .offset:         152
        .size:           4
        .value_kind:     hidden_block_count_z
      - .offset:         156
        .size:           2
        .value_kind:     hidden_group_size_x
      - .offset:         158
        .size:           2
        .value_kind:     hidden_group_size_y
      - .offset:         160
        .size:           2
        .value_kind:     hidden_group_size_z
      - .offset:         162
        .size:           2
        .value_kind:     hidden_remainder_x
      - .offset:         164
        .size:           2
        .value_kind:     hidden_remainder_y
      - .offset:         166
        .size:           2
        .value_kind:     hidden_remainder_z
      - .offset:         184
        .size:           8
        .value_kind:     hidden_global_offset_x
      - .offset:         192
        .size:           8
        .value_kind:     hidden_global_offset_y
      - .offset:         200
        .size:           8
        .value_kind:     hidden_global_offset_z
      - .offset:         208
        .size:           2
        .value_kind:     hidden_grid_dims
    .group_segment_fixed_size: 0
    .kernarg_segment_align: 8
    .kernarg_segment_size: 400
    .language:       OpenCL C
    .language_version:
      - 2
      - 0
    .max_flat_workgroup_size: 512
    .name:           _ZN2at6native21col2im_batched_kernelIN3c107complexIdEEEEvlPKT_llllllllllllllPS5_l
    .private_segment_fixed_size: 0
    .sgpr_count:     76
    .sgpr_spill_count: 0
    .symbol:         _ZN2at6native21col2im_batched_kernelIN3c107complexIdEEEEvlPKT_llllllllllllllPS5_l.kd
    .uniform_work_group_size: 1
    .uses_dynamic_stack: false
    .vgpr_count:     47
    .vgpr_spill_count: 0
    .wavefront_size: 32
    .workgroup_processor_mode: 1
  - .args:
      - .offset:         0
        .size:           8
        .value_kind:     by_value
      - .address_space:  global
        .offset:         8
        .size:           8
        .value_kind:     global_buffer
      - .offset:         16
        .size:           8
        .value_kind:     by_value
      - .offset:         24
        .size:           8
        .value_kind:     by_value
      - .offset:         32
        .size:           8
        .value_kind:     by_value
      - .offset:         40
        .size:           8
        .value_kind:     by_value
      - .offset:         48
        .size:           8
        .value_kind:     by_value
      - .offset:         56
        .size:           8
        .value_kind:     by_value
      - .offset:         64
        .size:           8
        .value_kind:     by_value
      - .offset:         72
        .size:           8
        .value_kind:     by_value
      - .offset:         80
        .size:           8
        .value_kind:     by_value
      - .offset:         88
        .size:           8
        .value_kind:     by_value
      - .offset:         96
        .size:           8
        .value_kind:     by_value
      - .offset:         104
        .size:           8
        .value_kind:     by_value
      - .offset:         112
        .size:           8
        .value_kind:     by_value
      - .offset:         120
        .size:           8
        .value_kind:     by_value
      - .address_space:  global
        .offset:         128
        .size:           8
        .value_kind:     global_buffer
      - .offset:         136
        .size:           8
        .value_kind:     by_value
      - .offset:         144
        .size:           4
        .value_kind:     hidden_block_count_x
      - .offset:         148
        .size:           4
        .value_kind:     hidden_block_count_y
      - .offset:         152
        .size:           4
        .value_kind:     hidden_block_count_z
      - .offset:         156
        .size:           2
        .value_kind:     hidden_group_size_x
      - .offset:         158
        .size:           2
        .value_kind:     hidden_group_size_y
      - .offset:         160
        .size:           2
        .value_kind:     hidden_group_size_z
      - .offset:         162
        .size:           2
        .value_kind:     hidden_remainder_x
      - .offset:         164
        .size:           2
        .value_kind:     hidden_remainder_y
      - .offset:         166
        .size:           2
        .value_kind:     hidden_remainder_z
      - .offset:         184
        .size:           8
        .value_kind:     hidden_global_offset_x
      - .offset:         192
        .size:           8
        .value_kind:     hidden_global_offset_y
      - .offset:         200
        .size:           8
        .value_kind:     hidden_global_offset_z
      - .offset:         208
        .size:           2
        .value_kind:     hidden_grid_dims
    .group_segment_fixed_size: 0
    .kernarg_segment_align: 8
    .kernarg_segment_size: 400
    .language:       OpenCL C
    .language_version:
      - 2
      - 0
    .max_flat_workgroup_size: 512
    .name:           _ZN2at6native21col2im_batched_kernelIN3c107complexIfEEEEvlPKT_llllllllllllllPS5_l
    .private_segment_fixed_size: 0
    .sgpr_count:     76
    .sgpr_spill_count: 0
    .symbol:         _ZN2at6native21col2im_batched_kernelIN3c107complexIfEEEEvlPKT_llllllllllllllPS5_l.kd
    .uniform_work_group_size: 1
    .uses_dynamic_stack: false
    .vgpr_count:     45
    .vgpr_spill_count: 0
    .wavefront_size: 32
    .workgroup_processor_mode: 1
  - .args:
      - .offset:         0
        .size:           8
        .value_kind:     by_value
      - .address_space:  global
        .offset:         8
        .size:           8
        .value_kind:     global_buffer
      - .offset:         16
        .size:           8
        .value_kind:     by_value
      - .offset:         24
        .size:           8
        .value_kind:     by_value
      - .offset:         32
        .size:           8
        .value_kind:     by_value
      - .offset:         40
        .size:           8
        .value_kind:     by_value
      - .offset:         48
        .size:           8
        .value_kind:     by_value
      - .offset:         56
        .size:           8
        .value_kind:     by_value
      - .offset:         64
        .size:           8
        .value_kind:     by_value
      - .offset:         72
        .size:           8
        .value_kind:     by_value
      - .offset:         80
        .size:           8
        .value_kind:     by_value
      - .offset:         88
        .size:           8
        .value_kind:     by_value
      - .offset:         96
        .size:           8
        .value_kind:     by_value
      - .offset:         104
        .size:           8
        .value_kind:     by_value
      - .offset:         112
        .size:           8
        .value_kind:     by_value
      - .offset:         120
        .size:           8
        .value_kind:     by_value
      - .address_space:  global
        .offset:         128
        .size:           8
        .value_kind:     global_buffer
      - .offset:         136
        .size:           8
        .value_kind:     by_value
      - .offset:         144
        .size:           4
        .value_kind:     hidden_block_count_x
      - .offset:         148
        .size:           4
        .value_kind:     hidden_block_count_y
      - .offset:         152
        .size:           4
        .value_kind:     hidden_block_count_z
      - .offset:         156
        .size:           2
        .value_kind:     hidden_group_size_x
      - .offset:         158
        .size:           2
        .value_kind:     hidden_group_size_y
      - .offset:         160
        .size:           2
        .value_kind:     hidden_group_size_z
      - .offset:         162
        .size:           2
        .value_kind:     hidden_remainder_x
      - .offset:         164
        .size:           2
        .value_kind:     hidden_remainder_y
      - .offset:         166
        .size:           2
        .value_kind:     hidden_remainder_z
      - .offset:         184
        .size:           8
        .value_kind:     hidden_global_offset_x
      - .offset:         192
        .size:           8
        .value_kind:     hidden_global_offset_y
      - .offset:         200
        .size:           8
        .value_kind:     hidden_global_offset_z
      - .offset:         208
        .size:           2
        .value_kind:     hidden_grid_dims
    .group_segment_fixed_size: 0
    .kernarg_segment_align: 8
    .kernarg_segment_size: 400
    .language:       OpenCL C
    .language_version:
      - 2
      - 0
    .max_flat_workgroup_size: 512
    .name:           _ZN2at6native21col2im_batched_kernelIN3c104HalfEEEvlPKT_llllllllllllllPS4_l
    .private_segment_fixed_size: 0
    .sgpr_count:     76
    .sgpr_spill_count: 0
    .symbol:         _ZN2at6native21col2im_batched_kernelIN3c104HalfEEEvlPKT_llllllllllllllPS4_l.kd
    .uniform_work_group_size: 1
    .uses_dynamic_stack: false
    .vgpr_count:     44
    .vgpr_spill_count: 0
    .wavefront_size: 32
    .workgroup_processor_mode: 1
  - .args:
      - .offset:         0
        .size:           8
        .value_kind:     by_value
      - .address_space:  global
        .offset:         8
        .size:           8
        .value_kind:     global_buffer
      - .offset:         16
        .size:           8
        .value_kind:     by_value
      - .offset:         24
        .size:           8
        .value_kind:     by_value
      - .offset:         32
        .size:           8
        .value_kind:     by_value
      - .offset:         40
        .size:           8
        .value_kind:     by_value
      - .offset:         48
        .size:           8
        .value_kind:     by_value
      - .offset:         56
        .size:           8
        .value_kind:     by_value
      - .offset:         64
        .size:           8
        .value_kind:     by_value
      - .offset:         72
        .size:           8
        .value_kind:     by_value
      - .offset:         80
        .size:           8
        .value_kind:     by_value
      - .offset:         88
        .size:           8
        .value_kind:     by_value
      - .offset:         96
        .size:           8
        .value_kind:     by_value
      - .offset:         104
        .size:           8
        .value_kind:     by_value
      - .offset:         112
        .size:           8
        .value_kind:     by_value
      - .offset:         120
        .size:           8
        .value_kind:     by_value
      - .address_space:  global
        .offset:         128
        .size:           8
        .value_kind:     global_buffer
      - .offset:         136
        .size:           8
        .value_kind:     by_value
      - .offset:         144
        .size:           4
        .value_kind:     hidden_block_count_x
      - .offset:         148
        .size:           4
        .value_kind:     hidden_block_count_y
      - .offset:         152
        .size:           4
        .value_kind:     hidden_block_count_z
      - .offset:         156
        .size:           2
        .value_kind:     hidden_group_size_x
      - .offset:         158
        .size:           2
        .value_kind:     hidden_group_size_y
      - .offset:         160
        .size:           2
        .value_kind:     hidden_group_size_z
      - .offset:         162
        .size:           2
        .value_kind:     hidden_remainder_x
      - .offset:         164
        .size:           2
        .value_kind:     hidden_remainder_y
      - .offset:         166
        .size:           2
        .value_kind:     hidden_remainder_z
      - .offset:         184
        .size:           8
        .value_kind:     hidden_global_offset_x
      - .offset:         192
        .size:           8
        .value_kind:     hidden_global_offset_y
      - .offset:         200
        .size:           8
        .value_kind:     hidden_global_offset_z
      - .offset:         208
        .size:           2
        .value_kind:     hidden_grid_dims
    .group_segment_fixed_size: 0
    .kernarg_segment_align: 8
    .kernarg_segment_size: 400
    .language:       OpenCL C
    .language_version:
      - 2
      - 0
    .max_flat_workgroup_size: 512
    .name:           _ZN2at6native21col2im_batched_kernelIN3c108BFloat16EEEvlPKT_llllllllllllllPS4_l
    .private_segment_fixed_size: 0
    .sgpr_count:     76
    .sgpr_spill_count: 0
    .symbol:         _ZN2at6native21col2im_batched_kernelIN3c108BFloat16EEEvlPKT_llllllllllllllPS4_l.kd
    .uniform_work_group_size: 1
    .uses_dynamic_stack: false
    .vgpr_count:     44
    .vgpr_spill_count: 0
    .wavefront_size: 32
    .workgroup_processor_mode: 1
  - .args:
      - .offset:         0
        .size:           8
        .value_kind:     by_value
      - .address_space:  global
        .offset:         8
        .size:           8
        .value_kind:     global_buffer
      - .offset:         16
        .size:           8
        .value_kind:     by_value
      - .offset:         24
        .size:           8
        .value_kind:     by_value
      - .offset:         32
        .size:           8
        .value_kind:     by_value
      - .offset:         40
        .size:           8
        .value_kind:     by_value
      - .offset:         48
        .size:           8
        .value_kind:     by_value
      - .offset:         56
        .size:           8
        .value_kind:     by_value
      - .offset:         64
        .size:           8
        .value_kind:     by_value
      - .offset:         72
        .size:           8
        .value_kind:     by_value
      - .offset:         80
        .size:           8
        .value_kind:     by_value
      - .offset:         88
        .size:           8
        .value_kind:     by_value
      - .offset:         96
        .size:           8
        .value_kind:     by_value
      - .offset:         104
        .size:           8
        .value_kind:     by_value
      - .offset:         112
        .size:           8
        .value_kind:     by_value
      - .offset:         120
        .size:           8
        .value_kind:     by_value
      - .address_space:  global
        .offset:         128
        .size:           8
        .value_kind:     global_buffer
      - .offset:         136
        .size:           8
        .value_kind:     by_value
      - .offset:         144
        .size:           4
        .value_kind:     hidden_block_count_x
      - .offset:         148
        .size:           4
        .value_kind:     hidden_block_count_y
      - .offset:         152
        .size:           4
        .value_kind:     hidden_block_count_z
      - .offset:         156
        .size:           2
        .value_kind:     hidden_group_size_x
      - .offset:         158
        .size:           2
        .value_kind:     hidden_group_size_y
      - .offset:         160
        .size:           2
        .value_kind:     hidden_group_size_z
      - .offset:         162
        .size:           2
        .value_kind:     hidden_remainder_x
      - .offset:         164
        .size:           2
        .value_kind:     hidden_remainder_y
      - .offset:         166
        .size:           2
        .value_kind:     hidden_remainder_z
      - .offset:         184
        .size:           8
        .value_kind:     hidden_global_offset_x
      - .offset:         192
        .size:           8
        .value_kind:     hidden_global_offset_y
      - .offset:         200
        .size:           8
        .value_kind:     hidden_global_offset_z
      - .offset:         208
        .size:           2
        .value_kind:     hidden_grid_dims
    .group_segment_fixed_size: 0
    .kernarg_segment_align: 8
    .kernarg_segment_size: 400
    .language:       OpenCL C
    .language_version:
      - 2
      - 0
    .max_flat_workgroup_size: 512
    .name:           _ZN2at6native21col2im_batched_kernelIbEEvlPKT_llllllllllllllPS2_l
    .private_segment_fixed_size: 0
    .sgpr_count:     78
    .sgpr_spill_count: 0
    .symbol:         _ZN2at6native21col2im_batched_kernelIbEEvlPKT_llllllllllllllPS2_l.kd
    .uniform_work_group_size: 1
    .uses_dynamic_stack: false
    .vgpr_count:     41
    .vgpr_spill_count: 0
    .wavefront_size: 32
    .workgroup_processor_mode: 1
amdhsa.target:   amdgcn-amd-amdhsa--gfx1030
amdhsa.version:
  - 1
  - 2
...

	.end_amdgpu_metadata
